;; amdgpu-corpus repo=ROCm/rocFFT kind=compiled arch=gfx950 opt=O3
	.text
	.amdgcn_target "amdgcn-amd-amdhsa--gfx950"
	.amdhsa_code_object_version 6
	.protected	bluestein_single_back_len507_dim1_sp_op_CI_CI ; -- Begin function bluestein_single_back_len507_dim1_sp_op_CI_CI
	.globl	bluestein_single_back_len507_dim1_sp_op_CI_CI
	.p2align	8
	.type	bluestein_single_back_len507_dim1_sp_op_CI_CI,@function
bluestein_single_back_len507_dim1_sp_op_CI_CI: ; @bluestein_single_back_len507_dim1_sp_op_CI_CI
; %bb.0:
	s_load_dwordx4 s[16:19], s[0:1], 0x28
	v_mul_u32_u24_e32 v1, 0x691, v0
	v_lshrrev_b32_e32 v2, 16, v1
	v_mad_u64_u32 v[88:89], s[2:3], s2, 3, v[2:3]
	v_mov_b32_e32 v49, 0
	v_mov_b32_e32 v89, v49
	s_waitcnt lgkmcnt(0)
	v_cmp_gt_u64_e32 vcc, s[16:17], v[88:89]
	s_and_saveexec_b64 s[2:3], vcc
	s_cbranch_execz .LBB0_10
; %bb.1:
	s_load_dwordx4 s[4:7], s[0:1], 0x18
	s_load_dwordx4 s[8:11], s[0:1], 0x0
	v_mul_lo_u16_e32 v1, 39, v2
	v_sub_u16_e32 v92, v0, v1
	v_mov_b32_e32 v4, s18
	s_waitcnt lgkmcnt(0)
	s_load_dwordx4 s[12:15], s[4:5], 0x0
	v_mov_b32_e32 v5, s19
	v_mov_b32_e32 v26, 0x138
	v_lshlrev_b32_e32 v48, 3, v92
	s_mov_b32 s18, 0x3f62ad3f
	s_waitcnt lgkmcnt(0)
	v_mad_u64_u32 v[0:1], s[2:3], s14, v88, 0
	v_mov_b32_e32 v2, v1
	v_mad_u64_u32 v[2:3], s[2:3], s15, v88, v[2:3]
	v_mov_b32_e32 v1, v2
	;; [unrolled: 2-line block ×4, first 2 shown]
	v_lshl_add_u64 v[0:1], v[0:1], 3, v[4:5]
	v_lshl_add_u64 v[0:1], v[2:3], 3, v[0:1]
	global_load_dwordx2 v[2:3], v[0:1], off
	v_mad_u64_u32 v[0:1], s[2:3], s12, v26, v[0:1]
	s_mul_i32 s4, s13, 0x138
	v_add_u32_e32 v1, s4, v1
	v_mad_u64_u32 v[4:5], s[2:3], s12, v26, v[0:1]
	v_add_u32_e32 v5, s4, v5
	global_load_dwordx2 v[102:103], v48, s[8:9]
	global_load_dwordx2 v[100:101], v48, s[8:9] offset:312
	global_load_dwordx2 v[6:7], v[0:1], off
	global_load_dwordx2 v[8:9], v[4:5], off
	v_mad_u64_u32 v[0:1], s[2:3], s12, v26, v[4:5]
	v_add_u32_e32 v1, s4, v1
	v_mad_u64_u32 v[4:5], s[2:3], s12, v26, v[0:1]
	v_add_u32_e32 v5, s4, v5
	global_load_dwordx2 v[98:99], v48, s[8:9] offset:624
	global_load_dwordx2 v[94:95], v48, s[8:9] offset:936
	global_load_dwordx2 v[10:11], v[4:5], off
	v_mad_u64_u32 v[4:5], s[2:3], s12, v26, v[4:5]
	global_load_dwordx2 v[0:1], v[0:1], off
	v_add_u32_e32 v5, s4, v5
	global_load_dwordx2 v[96:97], v48, s[8:9] offset:1248
	global_load_dwordx2 v[12:13], v[4:5], off
	global_load_dwordx2 v[90:91], v48, s[8:9] offset:1560
	v_mad_u64_u32 v[4:5], s[2:3], s12, v26, v[4:5]
	v_add_u32_e32 v5, s4, v5
	global_load_dwordx2 v[14:15], v[4:5], off
	global_load_dwordx2 v[86:87], v48, s[8:9] offset:1872
	v_mad_u64_u32 v[4:5], s[2:3], s12, v26, v[4:5]
	v_add_u32_e32 v5, s4, v5
	;; [unrolled: 4-line block ×7, first 2 shown]
	global_load_dwordx2 v[74:75], v48, s[8:9] offset:3744
	global_load_dwordx2 v[26:27], v[4:5], off
	s_mov_b32 s2, 0xaaaaaaab
	v_mul_hi_u32 v4, v88, s2
	v_lshrrev_b32_e32 v4, 1, v4
	v_lshl_add_u32 v4, v4, 1, v4
	v_sub_u32_e32 v4, v88, v4
	v_mul_u32_u24_e32 v4, 0x1fb, v4
	v_lshlrev_b32_e32 v93, 3, v4
	v_add_u32_e32 v89, v48, v93
	v_add_u32_e32 v126, 0x400, v89
	;; [unrolled: 1-line block ×3, first 2 shown]
	s_load_dwordx4 s[4:7], s[6:7], 0x0
	s_mov_b32 s2, 0xbeedf032
	s_mov_b32 s12, 0xbf52af12
	;; [unrolled: 1-line block ×14, first 2 shown]
	v_cmp_gt_u16_e32 vcc, 13, v92
	s_waitcnt vmcnt(24)
	v_mul_f32_e32 v4, v3, v103
	v_mul_f32_e32 v5, v2, v103
	v_fmac_f32_e32 v4, v2, v102
	v_fma_f32 v5, v3, v102, -v5
	s_waitcnt vmcnt(22)
	v_mul_f32_e32 v2, v7, v101
	v_mul_f32_e32 v3, v6, v101
	v_fmac_f32_e32 v2, v6, v100
	v_fma_f32 v3, v7, v100, -v3
	ds_write2_b64 v89, v[4:5], v[2:3] offset1:39
	s_waitcnt vmcnt(20)
	v_mul_f32_e32 v2, v9, v99
	v_mul_f32_e32 v3, v8, v99
	v_fmac_f32_e32 v2, v8, v98
	v_fma_f32 v3, v9, v98, -v3
	s_waitcnt vmcnt(17)
	v_mul_f32_e32 v4, v1, v95
	v_fmac_f32_e32 v4, v0, v94
	v_mul_f32_e32 v0, v0, v95
	v_fma_f32 v5, v1, v94, -v0
	ds_write2_b64 v89, v[2:3], v[4:5] offset0:78 offset1:117
	s_waitcnt vmcnt(16)
	v_mul_f32_e32 v0, v11, v97
	v_mul_f32_e32 v1, v10, v97
	s_waitcnt vmcnt(14)
	v_mul_f32_e32 v2, v13, v91
	v_mul_f32_e32 v3, v12, v91
	v_fmac_f32_e32 v0, v10, v96
	v_fma_f32 v1, v11, v96, -v1
	v_fmac_f32_e32 v2, v12, v90
	v_fma_f32 v3, v13, v90, -v3
	ds_write2_b64 v89, v[0:1], v[2:3] offset0:156 offset1:195
	s_waitcnt vmcnt(12)
	v_mul_f32_e32 v0, v15, v87
	v_mul_f32_e32 v1, v14, v87
	s_waitcnt vmcnt(10)
	v_mul_f32_e32 v2, v17, v85
	v_mul_f32_e32 v3, v16, v85
	v_fmac_f32_e32 v0, v14, v86
	v_fma_f32 v1, v15, v86, -v1
	v_fmac_f32_e32 v2, v16, v84
	v_fma_f32 v3, v17, v84, -v3
	ds_write2_b64 v126, v[0:1], v[2:3] offset0:106 offset1:145
	s_waitcnt vmcnt(8)
	v_mul_f32_e32 v0, v19, v83
	v_mul_f32_e32 v1, v18, v83
	s_waitcnt vmcnt(6)
	v_mul_f32_e32 v2, v21, v81
	v_mul_f32_e32 v3, v20, v81
	v_fmac_f32_e32 v0, v18, v82
	v_fma_f32 v1, v19, v82, -v1
	v_fmac_f32_e32 v2, v20, v80
	v_fma_f32 v3, v21, v80, -v3
	ds_write2_b64 v127, v[0:1], v[2:3] offset0:56 offset1:95
	s_waitcnt vmcnt(4)
	v_mul_f32_e32 v0, v23, v79
	v_mul_f32_e32 v1, v22, v79
	s_waitcnt vmcnt(2)
	v_mul_f32_e32 v2, v25, v77
	v_mul_f32_e32 v3, v24, v77
	v_fmac_f32_e32 v0, v22, v78
	v_fma_f32 v1, v23, v78, -v1
	v_fmac_f32_e32 v2, v24, v76
	v_fma_f32 v3, v25, v76, -v3
	ds_write2_b64 v127, v[0:1], v[2:3] offset0:134 offset1:173
	s_waitcnt vmcnt(0)
	v_mul_f32_e32 v0, v27, v75
	v_mul_f32_e32 v1, v26, v75
	v_fmac_f32_e32 v0, v26, v74
	v_fma_f32 v1, v27, v74, -v1
	ds_write_b64 v89, v[0:1] offset:3744
	s_waitcnt lgkmcnt(0)
	s_barrier
	ds_read2_b64 v[4:7], v89 offset0:156 offset1:195
	ds_read2_b64 v[8:11], v127 offset0:56 offset1:95
	;; [unrolled: 1-line block ×3, first 2 shown]
	ds_read2_b64 v[0:3], v89 offset1:39
	ds_read2_b64 v[22:25], v126 offset0:106 offset1:145
	ds_read2_b64 v[26:29], v127 offset0:134 offset1:173
	s_waitcnt lgkmcnt(4)
	v_pk_add_f32 v[16:17], v[10:11], v[4:5]
	v_pk_add_f32 v[18:19], v[4:5], v[10:11] neg_lo:[0,1] neg_hi:[0,1]
	s_waitcnt lgkmcnt(2)
	v_pk_add_f32 v[30:31], v[0:1], v[2:3]
	v_pk_add_f32 v[20:21], v[8:9], v[6:7]
	;; [unrolled: 1-line block ×3, first 2 shown]
	v_pk_add_f32 v[40:41], v[6:7], v[8:9] neg_lo:[0,1] neg_hi:[0,1]
	v_pk_add_f32 v[30:31], v[30:31], v[14:15]
	s_waitcnt lgkmcnt(0)
	v_pk_add_f32 v[60:61], v[26:27], v[14:15]
	v_pk_add_f32 v[4:5], v[30:31], v[4:5]
	v_pk_add_f32 v[66:67], v[14:15], v[26:27] neg_lo:[0,1] neg_hi:[0,1]
	v_pk_add_f32 v[4:5], v[4:5], v[6:7]
	ds_read_b64 v[6:7], v89 offset:3744
	v_pk_add_f32 v[4:5], v[4:5], v[22:23]
	v_pk_add_f32 v[58:59], v[12:13], v[28:29] neg_lo:[0,1] neg_hi:[0,1]
	v_pk_add_f32 v[4:5], v[4:5], v[24:25]
	v_pk_add_f32 v[50:51], v[28:29], v[12:13]
	;; [unrolled: 1-line block ×3, first 2 shown]
	s_waitcnt lgkmcnt(0)
	v_pk_add_f32 v[52:53], v[2:3], v[6:7] neg_lo:[0,1] neg_hi:[0,1]
	v_pk_add_f32 v[4:5], v[4:5], v[10:11]
	v_pk_add_f32 v[56:57], v[6:7], v[2:3]
	;; [unrolled: 1-line block ×5, first 2 shown]
	v_pk_add_f32 v[44:45], v[22:23], v[24:25] neg_lo:[0,1] neg_hi:[0,1]
	v_pk_add_f32 v[26:27], v[4:5], v[6:7]
	v_pk_mul_f32 v[4:5], v[52:53], s[2:3] op_sel:[1,0] op_sel_hi:[0,0]
	v_pk_fma_f32 v[2:3], v[56:57], s[18:19], v[4:5] op_sel_hi:[1,0,1]
	v_pk_fma_f32 v[8:9], v[56:57], s[18:19], v[4:5] op_sel_hi:[1,0,1] neg_lo:[0,0,1] neg_hi:[0,0,1]
	v_pk_mul_f32 v[6:7], v[58:59], s[12:13] op_sel_hi:[1,0]
	s_mov_b32 s2, 0xbf7e222b
	v_pk_fma_f32 v[4:5], v[50:51], s[20:21], v[6:7] op_sel:[0,0,1] op_sel_hi:[1,0,0]
	v_pk_fma_f32 v[10:11], v[50:51], s[20:21], v[6:7] op_sel:[0,0,1] op_sel_hi:[1,0,0] neg_lo:[0,0,1] neg_hi:[0,0,1]
	v_mov_b32_e32 v7, v9
	v_mov_b32_e32 v9, v3
	v_pk_add_f32 v[8:9], v[0:1], v[8:9]
	v_mov_b32_e32 v3, v11
	v_mov_b32_e32 v11, v5
	v_pk_add_f32 v[12:13], v[10:11], v[8:9]
	v_pk_mul_f32 v[10:11], v[66:67], s[2:3] op_sel_hi:[1,0]
	v_pk_mul_f32 v[28:29], v[40:41], s[16:17] op_sel_hi:[1,0]
	v_pk_fma_f32 v[8:9], v[60:61], s[24:25], v[10:11] op_sel:[0,0,1] op_sel_hi:[1,0,0]
	v_pk_fma_f32 v[14:15], v[60:61], s[24:25], v[10:11] op_sel:[0,0,1] op_sel_hi:[1,0,0] neg_lo:[0,0,1] neg_hi:[0,0,1]
	v_pk_mul_f32 v[30:31], v[44:45], s[22:23] op_sel_hi:[1,0]
	v_mov_b32_e32 v11, v15
	v_mov_b32_e32 v15, v9
	v_pk_add_f32 v[22:23], v[14:15], v[12:13]
	v_pk_mul_f32 v[12:13], v[18:19], s[14:15] op_sel_hi:[1,0]
	v_mul_lo_u16_e32 v5, 13, v92
	v_pk_fma_f32 v[14:15], v[16:17], s[28:29], v[12:13] op_sel:[0,0,1] op_sel_hi:[1,0,0]
	v_pk_fma_f32 v[24:25], v[16:17], s[28:29], v[12:13] op_sel:[0,0,1] op_sel_hi:[1,0,0] neg_lo:[0,0,1] neg_hi:[0,0,1]
	v_lshl_add_u32 v186, v5, 3, v93
	v_mov_b32_e32 v13, v25
	v_mov_b32_e32 v25, v15
	v_pk_add_f32 v[24:25], v[24:25], v[22:23]
	v_pk_fma_f32 v[22:23], v[20:21], s[30:31], v[28:29] op_sel:[0,0,1] op_sel_hi:[1,0,0]
	v_pk_fma_f32 v[28:29], v[20:21], s[30:31], v[28:29] op_sel:[0,0,1] op_sel_hi:[1,0,0] neg_lo:[0,0,1] neg_hi:[0,0,1]
	s_nop 0
	v_mov_b32_e32 v15, v29
	v_mov_b32_e32 v29, v23
	v_pk_add_f32 v[28:29], v[28:29], v[24:25]
	v_pk_fma_f32 v[24:25], v[42:43], s[26:27], v[30:31] op_sel:[0,0,1] op_sel_hi:[1,0,0]
	v_pk_fma_f32 v[30:31], v[42:43], s[26:27], v[30:31] op_sel:[0,0,1] op_sel_hi:[1,0,0] neg_lo:[0,0,1] neg_hi:[0,0,1]
	s_barrier
	v_mov_b32_e32 v9, v31
	v_mov_b32_e32 v31, v25
	v_pk_add_f32 v[28:29], v[30:31], v[28:29]
	ds_write2_b64 v186, v[26:27], v[28:29] offset1:1
	v_mov_b32_e32 v27, v57
	v_mov_b32_e32 v57, v52
	s_mov_b32 s21, s12
	v_mov_b32_e32 v26, v53
	s_mov_b32 s13, s20
	v_pk_mul_f32 v[30:31], v[56:57], s[20:21]
	v_pk_mul_f32 v[34:35], v[58:59], s[14:15] op_sel_hi:[1,0]
	v_pk_fma_f32 v[32:33], v[52:53], s[12:13], v[30:31] op_sel:[1,0,0] op_sel_hi:[0,1,1] neg_lo:[1,0,0] neg_hi:[1,0,0]
	v_pk_fma_f32 v[28:29], v[26:27], s[12:13], v[30:31]
	s_mov_b32 s3, s24
	v_mov_b32_e32 v33, v29
	v_pk_add_f32 v[36:37], v[0:1], v[32:33]
	v_pk_fma_f32 v[32:33], v[50:51], s[28:29], v[34:35] op_sel:[0,0,1] op_sel_hi:[1,0,0] neg_lo:[0,0,1] neg_hi:[0,0,1]
	v_pk_fma_f32 v[34:35], v[50:51], s[28:29], v[34:35] op_sel:[0,0,1] op_sel_hi:[1,0,0]
	v_mov_b32_e32 v38, v32
	v_mov_b32_e32 v39, v35
	v_pk_add_f32 v[38:39], v[38:39], v[36:37]
	v_pk_mul_f32 v[36:37], v[66:67], s[22:23] op_sel_hi:[1,0]
	s_mov_b32 s15, s28
	v_pk_fma_f32 v[54:55], v[60:61], s[26:27], v[36:37] op_sel:[0,0,1] op_sel_hi:[1,0,0] neg_lo:[0,0,1] neg_hi:[0,0,1]
	v_pk_fma_f32 v[36:37], v[60:61], s[26:27], v[36:37] op_sel:[0,0,1] op_sel_hi:[1,0,0]
	v_mov_b32_e32 v46, v54
	v_mov_b32_e32 v47, v37
	v_pk_add_f32 v[46:47], v[46:47], v[38:39]
	v_pk_mul_f32 v[38:39], v[18:19], s[38:39] op_sel_hi:[1,0]
	v_pk_mul_f32 v[134:135], v[58:59], s[38:39] op_sel_hi:[1,0]
	v_pk_fma_f32 v[64:65], v[16:17], s[30:31], v[38:39] op_sel:[0,0,1] op_sel_hi:[1,0,0] neg_lo:[0,0,1] neg_hi:[0,0,1]
	v_pk_fma_f32 v[38:39], v[16:17], s[30:31], v[38:39] op_sel:[0,0,1] op_sel_hi:[1,0,0]
	v_mov_b32_e32 v62, v64
	v_mov_b32_e32 v63, v39
	v_pk_add_f32 v[62:63], v[62:63], v[46:47]
	v_pk_mul_f32 v[46:47], v[40:41], s[36:37] op_sel_hi:[1,0]
	v_pk_fma_f32 v[136:137], v[50:51], s[30:31], v[134:135] op_sel:[0,0,1] op_sel_hi:[1,0,0] neg_lo:[0,0,1] neg_hi:[0,0,1]
	v_pk_fma_f32 v[68:69], v[20:21], s[24:25], v[46:47] op_sel:[0,0,1] op_sel_hi:[1,0,0] neg_lo:[0,0,1] neg_hi:[0,0,1]
	v_pk_fma_f32 v[46:47], v[20:21], s[24:25], v[46:47] op_sel:[0,0,1] op_sel_hi:[1,0,0]
	v_mov_b32_e32 v70, v68
	v_mov_b32_e32 v71, v47
	v_pk_add_f32 v[72:73], v[70:71], v[62:63]
	v_pk_mul_f32 v[62:63], v[44:45], s[34:35] op_sel_hi:[1,0]
	s_mov_b32 s25, s2
	v_pk_fma_f32 v[70:71], v[42:43], s[18:19], v[62:63] op_sel:[0,0,1] op_sel_hi:[1,0,0] neg_lo:[0,0,1] neg_hi:[0,0,1]
	v_pk_fma_f32 v[62:63], v[42:43], s[18:19], v[62:63] op_sel:[0,0,1] op_sel_hi:[1,0,0]
	v_mov_b32_e32 v104, v70
	v_mov_b32_e32 v105, v63
	v_pk_add_f32 v[128:129], v[104:105], v[72:73]
	v_pk_mul_f32 v[104:105], v[56:57], s[24:25]
	v_pk_fma_f32 v[134:135], v[50:51], s[30:31], v[134:135] op_sel:[0,0,1] op_sel_hi:[1,0,0]
	v_pk_fma_f32 v[106:107], v[52:53], s[2:3], v[104:105] op_sel:[1,0,0] op_sel_hi:[0,1,1] neg_lo:[1,0,0] neg_hi:[1,0,0]
	v_pk_fma_f32 v[72:73], v[26:27], s[2:3], v[104:105]
	v_mov_b32_e32 v138, v136
	v_mov_b32_e32 v107, v73
	v_pk_add_f32 v[110:111], v[0:1], v[106:107]
	v_pk_mul_f32 v[106:107], v[58:59], s[22:23] op_sel_hi:[1,0]
	v_mov_b32_e32 v139, v135
	v_pk_fma_f32 v[108:109], v[50:51], s[26:27], v[106:107] op_sel:[0,0,1] op_sel_hi:[1,0,0] neg_lo:[0,0,1] neg_hi:[0,0,1]
	v_pk_fma_f32 v[106:107], v[50:51], s[26:27], v[106:107] op_sel:[0,0,1] op_sel_hi:[1,0,0]
	v_mov_b32_e32 v112, v108
	v_mov_b32_e32 v113, v107
	v_pk_add_f32 v[112:113], v[112:113], v[110:111]
	v_pk_mul_f32 v[110:111], v[66:67], s[40:41] op_sel_hi:[1,0]
	s_mov_b32 s38, 0x3e750f2a
	v_pk_fma_f32 v[116:117], v[60:61], s[28:29], v[110:111] op_sel:[0,0,1] op_sel_hi:[1,0,0] neg_lo:[0,0,1] neg_hi:[0,0,1]
	v_pk_fma_f32 v[110:111], v[60:61], s[28:29], v[110:111] op_sel:[0,0,1] op_sel_hi:[1,0,0]
	v_mov_b32_e32 v114, v116
	v_mov_b32_e32 v115, v111
	v_pk_add_f32 v[114:115], v[114:115], v[112:113]
	v_pk_mul_f32 v[112:113], v[18:19], s[34:35] op_sel_hi:[1,0]
	s_mov_b32 s29, s14
	;; [unrolled: 7-line block ×4, first 2 shown]
	v_pk_fma_f32 v[124:125], v[42:43], s[30:31], v[118:119] op_sel:[0,0,1] op_sel_hi:[1,0,0] neg_lo:[0,0,1] neg_hi:[0,0,1]
	v_pk_fma_f32 v[118:119], v[42:43], s[30:31], v[118:119] op_sel:[0,0,1] op_sel_hi:[1,0,0]
	v_mov_b32_e32 v132, v124
	v_mov_b32_e32 v133, v119
	v_pk_add_f32 v[130:131], v[132:133], v[130:131]
	ds_write2_b64 v186, v[128:129], v[130:131] offset0:2 offset1:3
	v_pk_mul_f32 v[128:129], v[56:57], s[28:29]
	s_mov_b32 s31, s16
	v_pk_fma_f32 v[130:131], v[52:53], s[14:15], v[128:129] op_sel:[1,0,0] op_sel_hi:[0,1,1] neg_lo:[1,0,0] neg_hi:[1,0,0]
	v_pk_fma_f32 v[132:133], v[26:27], s[14:15], v[128:129]
	v_pk_mul_f32 v[160:161], v[58:59], s[36:37] op_sel_hi:[1,0]
	v_mov_b32_e32 v131, v133
	v_pk_add_f32 v[130:131], v[0:1], v[130:131]
	v_pk_fma_f32 v[162:163], v[50:51], s[24:25], v[160:161] op_sel:[0,0,1] op_sel_hi:[1,0,0] neg_lo:[0,0,1] neg_hi:[0,0,1]
	v_pk_add_f32 v[130:131], v[138:139], v[130:131]
	v_pk_mul_f32 v[138:139], v[66:67], s[34:35] op_sel_hi:[1,0]
	v_pk_fma_f32 v[160:161], v[50:51], s[24:25], v[160:161] op_sel:[0,0,1] op_sel_hi:[1,0,0]
	v_pk_fma_f32 v[140:141], v[60:61], s[18:19], v[138:139] op_sel:[0,0,1] op_sel_hi:[1,0,0] neg_lo:[0,0,1] neg_hi:[0,0,1]
	v_pk_fma_f32 v[138:139], v[60:61], s[18:19], v[138:139] op_sel:[0,0,1] op_sel_hi:[1,0,0]
	v_mov_b32_e32 v142, v140
	v_mov_b32_e32 v143, v139
	v_pk_add_f32 v[130:131], v[142:143], v[130:131]
	v_pk_mul_f32 v[142:143], v[18:19], s[2:3] op_sel_hi:[1,0]
	v_mov_b32_e32 v164, v162
	v_pk_fma_f32 v[144:145], v[16:17], s[24:25], v[142:143] op_sel:[0,0,1] op_sel_hi:[1,0,0] neg_lo:[0,0,1] neg_hi:[0,0,1]
	v_pk_fma_f32 v[142:143], v[16:17], s[24:25], v[142:143] op_sel:[0,0,1] op_sel_hi:[1,0,0]
	v_mov_b32_e32 v146, v144
	v_mov_b32_e32 v147, v143
	v_pk_add_f32 v[130:131], v[146:147], v[130:131]
	v_pk_mul_f32 v[146:147], v[40:41], s[38:39] op_sel_hi:[1,0]
	v_mov_b32_e32 v165, v161
	v_pk_fma_f32 v[148:149], v[20:21], s[26:27], v[146:147] op_sel:[0,0,1] op_sel_hi:[1,0,0] neg_lo:[0,0,1] neg_hi:[0,0,1]
	v_pk_fma_f32 v[146:147], v[20:21], s[26:27], v[146:147] op_sel:[0,0,1] op_sel_hi:[1,0,0]
	v_mov_b32_e32 v150, v148
	v_mov_b32_e32 v151, v147
	v_pk_add_f32 v[130:131], v[150:151], v[130:131]
	v_pk_mul_f32 v[150:151], v[44:45], s[40:41] op_sel_hi:[1,0]
	s_mov_b32 s23, s26
	v_pk_fma_f32 v[152:153], v[42:43], s[20:21], v[150:151] op_sel:[0,0,1] op_sel_hi:[1,0,0] neg_lo:[0,0,1] neg_hi:[0,0,1]
	v_pk_fma_f32 v[150:151], v[42:43], s[20:21], v[150:151] op_sel:[0,0,1] op_sel_hi:[1,0,0]
	v_mov_b32_e32 v154, v152
	v_mov_b32_e32 v155, v151
	v_pk_add_f32 v[130:131], v[154:155], v[130:131]
	v_pk_mul_f32 v[154:155], v[56:57], s[30:31]
	v_mov_b32_e32 v161, v163
	v_pk_fma_f32 v[156:157], v[52:53], s[16:17], v[154:155] op_sel:[1,0,0] op_sel_hi:[0,1,1] neg_lo:[1,0,0] neg_hi:[1,0,0]
	v_pk_fma_f32 v[158:159], v[26:27], s[16:17], v[154:155]
	v_mov_b32_e32 v135, v137
	v_mov_b32_e32 v157, v159
	v_pk_add_f32 v[156:157], v[0:1], v[156:157]
	v_mov_b32_e32 v6, v2
	v_pk_add_f32 v[156:157], v[164:165], v[156:157]
	v_pk_mul_f32 v[164:165], v[66:67], s[12:13] op_sel_hi:[1,0]
	v_pk_mul_f32 v[66:67], v[66:67], s[16:17] op_sel_hi:[1,0]
	v_pk_fma_f32 v[166:167], v[60:61], s[20:21], v[164:165] op_sel:[0,0,1] op_sel_hi:[1,0,0] neg_lo:[0,0,1] neg_hi:[0,0,1]
	v_pk_fma_f32 v[164:165], v[60:61], s[20:21], v[164:165] op_sel:[0,0,1] op_sel_hi:[1,0,0]
	v_mov_b32_e32 v168, v166
	v_mov_b32_e32 v169, v165
	v_pk_add_f32 v[156:157], v[168:169], v[156:157]
	v_pk_mul_f32 v[168:169], v[18:19], s[38:39] op_sel_hi:[1,0]
	v_pk_mul_f32 v[18:19], v[18:19], s[40:41] op_sel_hi:[1,0]
	v_pk_fma_f32 v[170:171], v[16:17], s[26:27], v[168:169] op_sel:[0,0,1] op_sel_hi:[1,0,0] neg_lo:[0,0,1] neg_hi:[0,0,1]
	v_pk_fma_f32 v[168:169], v[16:17], s[26:27], v[168:169] op_sel:[0,0,1] op_sel_hi:[1,0,0]
	v_mov_b32_e32 v172, v170
	v_mov_b32_e32 v173, v169
	v_pk_add_f32 v[156:157], v[172:173], v[156:157]
	v_pk_mul_f32 v[172:173], v[40:41], s[34:35] op_sel_hi:[1,0]
	s_mov_b32 s27, s22
	v_pk_fma_f32 v[174:175], v[20:21], s[18:19], v[172:173] op_sel:[0,0,1] op_sel_hi:[1,0,0] neg_lo:[0,0,1] neg_hi:[0,0,1]
	v_pk_fma_f32 v[172:173], v[20:21], s[18:19], v[172:173] op_sel:[0,0,1] op_sel_hi:[1,0,0]
	v_mov_b32_e32 v176, v174
	v_mov_b32_e32 v177, v173
	v_pk_add_f32 v[156:157], v[176:177], v[156:157]
	v_pk_mul_f32 v[176:177], v[44:45], s[14:15] op_sel_hi:[1,0]
	v_mov_b32_e32 v165, v167
	v_pk_fma_f32 v[178:179], v[42:43], s[28:29], v[176:177] op_sel:[0,0,1] op_sel_hi:[1,0,0] neg_lo:[0,0,1] neg_hi:[0,0,1]
	v_pk_fma_f32 v[176:177], v[42:43], s[28:29], v[176:177] op_sel:[0,0,1] op_sel_hi:[1,0,0]
	v_mov_b32_e32 v180, v178
	v_mov_b32_e32 v181, v177
	v_pk_add_f32 v[156:157], v[180:181], v[156:157]
	ds_write2_b64 v186, v[130:131], v[156:157] offset0:4 offset1:5
	v_pk_fma_f32 v[130:131], v[60:61], s[30:31], v[66:67] op_sel:[0,0,1] op_sel_hi:[1,0,0] neg_lo:[0,0,1] neg_hi:[0,0,1]
	v_pk_fma_f32 v[60:61], v[60:61], s[30:31], v[66:67] op_sel:[0,0,1] op_sel_hi:[1,0,0]
	v_pk_fma_f32 v[66:67], v[16:17], s[20:21], v[18:19] op_sel:[0,0,1] op_sel_hi:[1,0,0] neg_lo:[0,0,1] neg_hi:[0,0,1]
	v_pk_fma_f32 v[16:17], v[16:17], s[20:21], v[18:19] op_sel:[0,0,1] op_sel_hi:[1,0,0]
	v_pk_mul_f32 v[18:19], v[40:41], s[14:15] op_sel_hi:[1,0]
	v_mov_b32_e32 v139, v141
	v_pk_fma_f32 v[40:41], v[20:21], s[28:29], v[18:19] op_sel:[0,0,1] op_sel_hi:[1,0,0] neg_lo:[0,0,1] neg_hi:[0,0,1]
	v_pk_fma_f32 v[18:19], v[20:21], s[28:29], v[18:19] op_sel:[0,0,1] op_sel_hi:[1,0,0]
	v_pk_mul_f32 v[20:21], v[44:45], s[36:37] op_sel_hi:[1,0]
	v_mov_b32_e32 v2, v4
	v_pk_fma_f32 v[44:45], v[42:43], s[24:25], v[20:21] op_sel:[0,0,1] op_sel_hi:[1,0,0] neg_lo:[0,0,1] neg_hi:[0,0,1]
	v_pk_fma_f32 v[20:21], v[42:43], s[24:25], v[20:21] op_sel:[0,0,1] op_sel_hi:[1,0,0]
	v_pk_mul_f32 v[42:43], v[58:59], s[34:35] op_sel_hi:[1,0]
	v_pk_add_f32 v[4:5], v[0:1], v[6:7]
	v_pk_fma_f32 v[58:59], v[50:51], s[18:19], v[42:43] op_sel:[0,0,1] op_sel_hi:[1,0,0] neg_lo:[0,0,1] neg_hi:[0,0,1]
	v_pk_fma_f32 v[42:43], v[50:51], s[18:19], v[42:43] op_sel:[0,0,1] op_sel_hi:[1,0,0]
	v_pk_mul_f32 v[50:51], v[56:57], s[26:27]
	v_mov_b32_e32 v156, v58
	v_pk_fma_f32 v[52:53], v[52:53], s[22:23], v[50:51] op_sel:[1,0,0] op_sel_hi:[0,1,1] neg_lo:[1,0,0] neg_hi:[1,0,0]
	v_pk_fma_f32 v[56:57], v[26:27], s[22:23], v[50:51]
	v_mov_b32_e32 v157, v43
	v_mov_b32_e32 v53, v57
	v_pk_add_f32 v[52:53], v[0:1], v[52:53]
	v_mov_b32_e32 v43, v59
	v_pk_add_f32 v[52:53], v[156:157], v[52:53]
	v_mov_b32_e32 v156, v130
	v_mov_b32_e32 v157, v61
	v_pk_add_f32 v[52:53], v[156:157], v[52:53]
	v_mov_b32_e32 v156, v66
	;; [unrolled: 3-line block ×3, first 2 shown]
	v_mov_b32_e32 v157, v19
	v_mov_b32_e32 v19, v41
	v_pk_fma_f32 v[40:41], v[26:27], s[22:23], v[50:51] neg_lo:[0,0,1] neg_hi:[0,0,1]
	v_mov_b32_e32 v61, v131
	v_mov_b32_e32 v57, v41
	v_pk_add_f32 v[40:41], v[0:1], v[56:57]
	v_mov_b32_e32 v17, v67
	v_pk_add_f32 v[40:41], v[42:43], v[40:41]
	v_pk_add_f32 v[52:53], v[156:157], v[52:53]
	;; [unrolled: 1-line block ×3, first 2 shown]
	v_mov_b32_e32 v156, v44
	v_pk_add_f32 v[16:17], v[16:17], v[40:41]
	v_mov_b32_e32 v157, v21
	v_mov_b32_e32 v21, v45
	v_pk_add_f32 v[16:17], v[18:19], v[16:17]
	v_pk_add_f32 v[52:53], v[156:157], v[52:53]
	;; [unrolled: 1-line block ×3, first 2 shown]
	ds_write2_b64 v186, v[52:53], v[16:17] offset0:6 offset1:7
	v_pk_fma_f32 v[16:17], v[26:27], s[16:17], v[154:155] neg_lo:[0,0,1] neg_hi:[0,0,1]
	v_pk_fma_f32 v[18:19], v[26:27], s[14:15], v[128:129] neg_lo:[0,0,1] neg_hi:[0,0,1]
	v_mov_b32_e32 v159, v17
	v_mov_b32_e32 v133, v19
	v_pk_add_f32 v[16:17], v[0:1], v[158:159]
	v_pk_add_f32 v[18:19], v[0:1], v[132:133]
	;; [unrolled: 1-line block ×4, first 2 shown]
	v_mov_b32_e32 v169, v171
	v_pk_add_f32 v[16:17], v[164:165], v[16:17]
	v_mov_b32_e32 v143, v145
	v_pk_add_f32 v[18:19], v[138:139], v[18:19]
	;; [unrolled: 2-line block ×9, first 2 shown]
	v_pk_add_f32 v[16:17], v[176:177], v[16:17]
	v_pk_add_f32 v[18:19], v[150:151], v[18:19]
	v_mov_b32_e32 v8, v24
	v_pk_add_f32 v[2:3], v[14:15], v[2:3]
	ds_write2_b64 v186, v[16:17], v[18:19] offset0:8 offset1:9
	v_pk_fma_f32 v[4:5], v[26:27], s[2:3], v[104:105] neg_lo:[0,0,1] neg_hi:[0,0,1]
	v_pk_add_f32 v[16:17], v[8:9], v[2:3]
	v_pk_fma_f32 v[2:3], v[26:27], s[12:13], v[30:31] neg_lo:[0,0,1] neg_hi:[0,0,1]
	v_mov_b32_e32 v73, v5
	v_mov_b32_e32 v29, v3
	;; [unrolled: 1-line block ×3, first 2 shown]
	v_pk_add_f32 v[4:5], v[0:1], v[72:73]
	v_pk_add_f32 v[0:1], v[0:1], v[28:29]
	v_mov_b32_e32 v35, v33
	v_mov_b32_e32 v111, v117
	v_pk_add_f32 v[4:5], v[106:107], v[4:5]
	v_mov_b32_e32 v37, v55
	v_pk_add_f32 v[0:1], v[34:35], v[0:1]
	;; [unrolled: 2-line block ×8, first 2 shown]
	v_pk_add_f32 v[4:5], v[118:119], v[4:5]
	v_pk_add_f32 v[0:1], v[62:63], v[0:1]
	ds_write2_b64 v186, v[4:5], v[0:1] offset0:10 offset1:11
	ds_write_b64 v186, v[16:17] offset:96
	s_waitcnt lgkmcnt(0)
	s_barrier
	ds_read2_b64 v[36:39], v89 offset1:39
	ds_read2_b64 v[44:47], v89 offset0:169 offset1:208
	ds_read2_b64 v[40:43], v127 offset0:82 offset1:121
	ds_read2_b64 v[20:23], v89 offset0:78 offset1:117
	ds_read2_b64 v[32:35], v126 offset0:119 offset1:158
	ds_read2_b64 v[28:31], v127 offset0:160 offset1:199
	s_load_dwordx2 s[2:3], s[0:1], 0x38
	v_cmp_lt_u16_e64 s[0:1], 12, v92
                                        ; implicit-def: $vgpr52
                                        ; implicit-def: $vgpr54
                                        ; implicit-def: $vgpr56
	s_and_saveexec_b64 s[12:13], vcc
	s_cbranch_execz .LBB0_3
; %bb.2:
	ds_read2_b64 v[16:19], v126 offset0:28 offset1:197
	ds_read_b64 v[54:55], v89 offset:3952
	s_waitcnt lgkmcnt(0)
	v_mov_b32_e32 v52, v19
	v_mov_b32_e32 v56, v55
.LBB0_3:
	s_or_b64 exec, exec, s[12:13]
	s_movk_i32 s13, 0x4f
	v_mul_lo_u16_sdwa v0, v92, s13 dst_sel:DWORD dst_unused:UNUSED_PAD src0_sel:BYTE_0 src1_sel:DWORD
	v_add_u16_e32 v1, 39, v92
	v_lshrrev_b16_e32 v19, 10, v0
	v_mul_lo_u16_sdwa v2, v1, s13 dst_sel:DWORD dst_unused:UNUSED_PAD src0_sel:BYTE_0 src1_sel:DWORD
	v_mul_lo_u16_e32 v0, 13, v19
	v_lshrrev_b16_e32 v26, 10, v2
	v_sub_u16_e32 v24, v92, v0
	v_mov_b32_e32 v25, 4
	v_mul_lo_u16_e32 v2, 13, v26
	v_lshlrev_b32_sdwa v0, v25, v24 dst_sel:DWORD dst_unused:UNUSED_PAD src0_sel:DWORD src1_sel:BYTE_0
	v_sub_u16_e32 v27, v1, v2
	v_lshlrev_b32_sdwa v1, v25, v27 dst_sel:DWORD dst_unused:UNUSED_PAD src0_sel:DWORD src1_sel:BYTE_0
	global_load_dwordx4 v[8:11], v0, s[10:11]
	global_load_dwordx4 v[4:7], v1, s[10:11]
	v_add_u16_e32 v0, 0x9c, v92
	v_mul_lo_u16_sdwa v1, v0, s13 dst_sel:DWORD dst_unused:UNUSED_PAD src0_sel:BYTE_0 src1_sel:DWORD
	v_lshrrev_b16_e32 v1, 10, v1
	v_mul_lo_u16_e32 v1, 13, v1
	v_sub_u16_e32 v187, v0, v1
	v_lshlrev_b16_e32 v0, 1, v187
	v_and_b32_e32 v0, 0xfe, v0
	v_lshlrev_b32_e32 v0, 3, v0
	global_load_dwordx4 v[0:3], v0, s[10:11]
	v_add_u16_e32 v12, 0x4e, v92
	v_mul_lo_u16_sdwa v13, v12, s13 dst_sel:DWORD dst_unused:UNUSED_PAD src0_sel:BYTE_0 src1_sel:DWORD
	v_lshrrev_b16_e32 v68, 10, v13
	v_mul_lo_u16_e32 v13, 13, v68
	v_sub_u16_e32 v69, v12, v13
	v_lshlrev_b32_sdwa v12, v25, v69 dst_sel:DWORD dst_unused:UNUSED_PAD src0_sel:DWORD src1_sel:BYTE_0
	global_load_dwordx4 v[12:15], v12, s[10:11]
	v_lshl_add_u64 v[50:51], s[8:9], 0, v[48:49]
	v_add_u16_e32 v49, 0x75, v92
	v_mul_lo_u16_sdwa v53, v49, s13 dst_sel:DWORD dst_unused:UNUSED_PAD src0_sel:BYTE_0 src1_sel:DWORD
	v_lshrrev_b16_e32 v70, 10, v53
	v_mul_lo_u16_e32 v53, 13, v70
	v_sub_u16_e32 v49, v49, v53
	v_mul_u32_u24_e32 v19, 39, v19
	v_mul_u32_u24_e32 v26, 39, v26
	v_lshlrev_b32_sdwa v25, v25, v49 dst_sel:DWORD dst_unused:UNUSED_PAD src0_sel:DWORD src1_sel:BYTE_0
	v_add_u32_sdwa v19, v19, v24 dst_sel:DWORD dst_unused:UNUSED_PAD src0_sel:DWORD src1_sel:BYTE_0
	v_add_u32_sdwa v53, v26, v27 dst_sel:DWORD dst_unused:UNUSED_PAD src0_sel:DWORD src1_sel:BYTE_0
	global_load_dwordx4 v[24:27], v25, s[10:11]
	v_lshl_add_u32 v189, v19, 3, v93
	v_lshl_add_u32 v188, v53, 3, v93
	s_mov_b32 s12, 0x3f5db3d7
	s_waitcnt lgkmcnt(0)
	s_barrier
	s_waitcnt vmcnt(4)
	v_pk_mul_f32 v[58:59], v[44:45], v[8:9] op_sel:[0,1]
	v_mov_b32_e32 v60, v11
	v_pk_fma_f32 v[66:67], v[44:45], v[8:9], v[58:59] op_sel:[0,0,1] op_sel_hi:[1,1,0] neg_lo:[0,0,1] neg_hi:[0,0,1]
	v_pk_fma_f32 v[44:45], v[44:45], v[8:9], v[58:59] op_sel:[0,0,1] op_sel_hi:[1,0,0]
	v_pk_mul_f32 v[58:59], v[40:41], v[60:61] op_sel_hi:[1,0]
	v_mov_b32_e32 v67, v45
	v_pk_fma_f32 v[44:45], v[40:41], v[10:11], v[58:59] op_sel:[0,0,1] op_sel_hi:[1,1,0] neg_lo:[0,0,1] neg_hi:[0,0,1]
	v_pk_fma_f32 v[40:41], v[40:41], v[10:11], v[58:59] op_sel:[0,0,1] op_sel_hi:[1,0,0]
	s_waitcnt vmcnt(3)
	v_pk_mul_f32 v[62:63], v[46:47], v[4:5] op_sel:[0,1]
	v_mov_b32_e32 v45, v41
	s_waitcnt vmcnt(2)
	v_pk_mul_f32 v[18:19], v[18:19], v[0:1] op_sel_hi:[0,1]
	v_pk_mul_f32 v[54:55], v[54:55], v[2:3] op_sel_hi:[0,1]
	v_pk_fma_f32 v[58:59], v[52:53], v[0:1], v[18:19] op_sel:[0,0,1] op_sel_hi:[0,1,0]
	v_pk_fma_f32 v[18:19], v[52:53], v[0:1], v[18:19] op_sel:[0,0,1] op_sel_hi:[0,1,0] neg_lo:[1,0,0] neg_hi:[1,0,0]
	v_pk_fma_f32 v[52:53], v[56:57], v[2:3], v[54:55] op_sel:[0,0,1] op_sel_hi:[0,1,0]
	v_pk_fma_f32 v[54:55], v[56:57], v[2:3], v[54:55] op_sel:[0,0,1] op_sel_hi:[0,1,0] neg_lo:[1,0,0] neg_hi:[1,0,0]
	v_pk_add_f32 v[56:57], v[36:37], v[66:67]
	v_mov_b32_e32 v53, v55
	v_mov_b32_e32 v40, v55
	v_pk_add_f32 v[54:55], v[56:57], v[44:45]
	v_pk_add_f32 v[56:57], v[66:67], v[44:45]
	v_pk_add_f32 v[44:45], v[66:67], v[44:45] neg_lo:[0,1] neg_hi:[0,1]
	v_mov_b32_e32 v59, v19
	v_pk_fma_f32 v[36:37], v[56:57], 0.5, v[36:37] op_sel_hi:[1,0,1] neg_lo:[1,0,0] neg_hi:[1,0,0]
	v_pk_mul_f32 v[44:45], v[44:45], s[12:13] op_sel_hi:[1,0]
	v_mov_b32_e32 v64, v7
	v_mov_b32_e32 v18, v19
	;; [unrolled: 1-line block ×4, first 2 shown]
	v_pk_add_f32 v[52:53], v[58:59], v[52:53] neg_lo:[0,1] neg_hi:[0,1]
	v_pk_add_f32 v[58:59], v[36:37], v[44:45] op_sel:[0,1] op_sel_hi:[1,0]
	v_pk_add_f32 v[36:37], v[36:37], v[44:45] op_sel:[0,1] op_sel_hi:[1,0] neg_lo:[0,1] neg_hi:[0,1]
	v_pk_fma_f32 v[60:61], v[46:47], v[4:5], v[62:63] op_sel:[0,0,1] op_sel_hi:[1,1,0] neg_lo:[0,0,1] neg_hi:[0,0,1]
	v_pk_fma_f32 v[46:47], v[46:47], v[4:5], v[62:63] op_sel:[0,0,1] op_sel_hi:[1,0,0]
	v_pk_mul_f32 v[62:63], v[42:43], v[64:65] op_sel_hi:[1,0]
	v_mov_b32_e32 v44, v58
	v_mov_b32_e32 v45, v37
	;; [unrolled: 1-line block ×4, first 2 shown]
	v_pk_fma_f32 v[46:47], v[42:43], v[6:7], v[62:63] op_sel:[0,0,1] op_sel_hi:[1,1,0] neg_lo:[0,0,1] neg_hi:[0,0,1]
	ds_write2_b64 v189, v[54:55], v[44:45] offset1:13
	ds_write_b64 v189, v[36:37] offset:208
	v_pk_fma_f32 v[36:37], v[42:43], v[6:7], v[62:63] op_sel:[0,0,1] op_sel_hi:[1,0,0]
	v_pk_add_f32 v[64:65], v[18:19], v[40:41]
	v_mov_b32_e32 v47, v37
	v_pk_add_f32 v[42:43], v[60:61], v[46:47]
	v_pk_add_f32 v[36:37], v[38:39], v[60:61]
	v_pk_fma_f32 v[38:39], v[42:43], 0.5, v[38:39] op_sel_hi:[1,0,1] neg_lo:[1,0,0] neg_hi:[1,0,0]
	v_pk_add_f32 v[42:43], v[60:61], v[46:47] neg_lo:[0,1] neg_hi:[0,1]
	v_pk_add_f32 v[36:37], v[36:37], v[46:47]
	v_pk_mul_f32 v[42:43], v[42:43], s[12:13] op_sel_hi:[1,0]
	v_pk_fma_f32 v[56:57], v[64:65], 0.5, v[16:17] op_sel_hi:[1,0,1] neg_lo:[1,0,0] neg_hi:[1,0,0]
	v_pk_add_f32 v[44:45], v[38:39], v[42:43] op_sel:[0,1] op_sel_hi:[1,0]
	v_pk_add_f32 v[38:39], v[38:39], v[42:43] op_sel:[0,1] op_sel_hi:[1,0] neg_lo:[0,1] neg_hi:[0,1]
	v_mov_b32_e32 v42, v44
	v_mov_b32_e32 v43, v39
	ds_write2_b64 v188, v[36:37], v[42:43] offset1:13
	v_mul_u32_u24_e32 v36, 39, v68
	v_add_u32_sdwa v36, v36, v69 dst_sel:DWORD dst_unused:UNUSED_PAD src0_sel:DWORD src1_sel:BYTE_0
	v_mov_b32_e32 v39, v45
	v_lshl_add_u32 v190, v36, 3, v93
	s_waitcnt vmcnt(1)
	v_pk_mul_f32 v[36:37], v[32:33], v[12:13] op_sel:[0,1]
	ds_write_b64 v188, v[38:39] offset:208
	v_pk_fma_f32 v[38:39], v[32:33], v[12:13], v[36:37] op_sel:[0,0,1] op_sel_hi:[1,1,0] neg_lo:[0,0,1] neg_hi:[0,0,1]
	v_pk_fma_f32 v[32:33], v[32:33], v[12:13], v[36:37] op_sel:[0,0,1] op_sel_hi:[1,0,0]
	v_pk_fma_f32 v[104:105], v[52:53], s[12:13], v[56:57] op_sel_hi:[1,0,1] neg_lo:[1,0,0] neg_hi:[1,0,0]
	v_mov_b32_e32 v32, v15
	v_mov_b32_e32 v39, v33
	v_pk_mul_f32 v[32:33], v[28:29], v[32:33] op_sel_hi:[1,0]
	v_pk_fma_f32 v[106:107], v[52:53], s[12:13], v[56:57] op_sel_hi:[1,0,1]
	v_pk_fma_f32 v[36:37], v[28:29], v[14:15], v[32:33] op_sel:[0,0,1] op_sel_hi:[1,1,0] neg_lo:[0,0,1] neg_hi:[0,0,1]
	v_pk_fma_f32 v[28:29], v[28:29], v[14:15], v[32:33] op_sel:[0,0,1] op_sel_hi:[1,0,0]
	s_nop 0
	v_mov_b32_e32 v37, v29
	v_pk_add_f32 v[32:33], v[38:39], v[36:37]
	v_pk_add_f32 v[28:29], v[20:21], v[38:39]
	v_pk_fma_f32 v[20:21], v[32:33], 0.5, v[20:21] op_sel_hi:[1,0,1] neg_lo:[1,0,0] neg_hi:[1,0,0]
	v_pk_add_f32 v[32:33], v[38:39], v[36:37] neg_lo:[0,1] neg_hi:[0,1]
	v_pk_add_f32 v[28:29], v[28:29], v[36:37]
	v_pk_mul_f32 v[32:33], v[32:33], s[12:13] op_sel_hi:[1,0]
	s_nop 0
	v_pk_add_f32 v[36:37], v[20:21], v[32:33] op_sel:[0,1] op_sel_hi:[1,0]
	v_pk_add_f32 v[20:21], v[20:21], v[32:33] op_sel:[0,1] op_sel_hi:[1,0] neg_lo:[0,1] neg_hi:[0,1]
	v_mov_b32_e32 v32, v36
	v_mov_b32_e32 v33, v21
	;; [unrolled: 1-line block ×3, first 2 shown]
	ds_write_b64 v190, v[20:21] offset:208
	v_mul_u32_u24_e32 v20, 39, v70
	v_add_u32_sdwa v20, v20, v49 dst_sel:DWORD dst_unused:UNUSED_PAD src0_sel:DWORD src1_sel:BYTE_0
	v_lshl_add_u32 v191, v20, 3, v93
	s_waitcnt vmcnt(0)
	v_pk_mul_f32 v[20:21], v[34:35], v[24:25] op_sel:[0,1]
	ds_write2_b64 v190, v[28:29], v[32:33] offset1:13
	v_pk_fma_f32 v[28:29], v[34:35], v[24:25], v[20:21] op_sel:[0,0,1] op_sel_hi:[1,1,0] neg_lo:[0,0,1] neg_hi:[0,0,1]
	v_pk_fma_f32 v[20:21], v[34:35], v[24:25], v[20:21] op_sel:[0,0,1] op_sel_hi:[1,0,0]
	s_nop 0
	v_mov_b32_e32 v20, v27
	v_mov_b32_e32 v29, v21
	v_pk_mul_f32 v[20:21], v[30:31], v[20:21] op_sel_hi:[1,0]
	s_nop 0
	v_pk_fma_f32 v[32:33], v[30:31], v[26:27], v[20:21] op_sel:[0,0,1] op_sel_hi:[1,1,0] neg_lo:[0,0,1] neg_hi:[0,0,1]
	v_pk_fma_f32 v[20:21], v[30:31], v[26:27], v[20:21] op_sel:[0,0,1] op_sel_hi:[1,0,0]
	s_nop 0
	v_mov_b32_e32 v33, v21
	v_pk_add_f32 v[20:21], v[22:23], v[28:29]
	v_pk_add_f32 v[30:31], v[28:29], v[32:33]
	v_pk_add_f32 v[28:29], v[28:29], v[32:33] neg_lo:[0,1] neg_hi:[0,1]
	v_pk_fma_f32 v[22:23], v[30:31], 0.5, v[22:23] op_sel_hi:[1,0,1] neg_lo:[1,0,0] neg_hi:[1,0,0]
	v_pk_mul_f32 v[28:29], v[28:29], s[12:13] op_sel_hi:[1,0]
	v_pk_add_f32 v[20:21], v[20:21], v[32:33]
	v_pk_add_f32 v[30:31], v[22:23], v[28:29] op_sel:[0,1] op_sel_hi:[1,0]
	v_pk_add_f32 v[22:23], v[22:23], v[28:29] op_sel:[0,1] op_sel_hi:[1,0] neg_lo:[0,1] neg_hi:[0,1]
	v_mov_b32_e32 v28, v30
	v_mov_b32_e32 v29, v23
	;; [unrolled: 1-line block ×3, first 2 shown]
	ds_write2_b64 v191, v[20:21], v[28:29] offset1:13
	ds_write_b64 v191, v[22:23] offset:208
	s_and_saveexec_b64 s[12:13], vcc
	s_cbranch_execz .LBB0_5
; %bb.4:
	v_and_b32_e32 v20, 0xff, v187
	v_lshl_add_u32 v20, v20, 3, v93
	v_pk_add_f32 v[16:17], v[16:17], v[18:19]
	v_mov_b32_e32 v18, v106
	v_pk_add_f32 v[16:17], v[16:17], v[40:41]
	v_mov_b32_e32 v19, v105
	v_add_u32_e32 v21, 0x800, v20
	ds_write2_b64 v21, v[16:17], v[18:19] offset0:212 offset1:225
	v_mov_b32_e32 v16, v104
	v_mov_b32_e32 v17, v107
	ds_write_b64 v20, v[16:17] offset:3952
.LBB0_5:
	s_or_b64 exec, exec, s[12:13]
	s_movk_i32 s12, 0x60
	v_mov_b64_e32 v[16:17], s[10:11]
	v_mad_u64_u32 v[44:45], s[10:11], v92, s12, v[16:17]
	s_waitcnt lgkmcnt(0)
	s_barrier
	global_load_dwordx4 v[20:23], v[44:45], off offset:208
	global_load_dwordx4 v[16:19], v[44:45], off offset:224
	;; [unrolled: 1-line block ×6, first 2 shown]
	ds_read2_b64 v[52:55], v89 offset0:156 offset1:195
	ds_read2_b64 v[44:47], v89 offset1:39
	ds_read2_b64 v[56:59], v89 offset0:78 offset1:117
	v_add_u32_e32 v192, 0x400, v89
	v_add_u32_e32 v193, 0x800, v89
	ds_read_b64 v[72:73], v89 offset:3744
	ds_read2_b64 v[60:63], v192 offset0:106 offset1:145
	ds_read2_b64 v[64:67], v193 offset0:56 offset1:95
	;; [unrolled: 1-line block ×3, first 2 shown]
	s_waitcnt lgkmcnt(5)
	v_mov_b32_e32 v108, v47
	s_waitcnt lgkmcnt(4)
	v_mov_b32_e32 v110, v57
	v_mov_b32_e32 v112, v59
	s_mov_b32 s24, 0xbeedf032
	s_mov_b32 s25, 0x3f62ad3f
	;; [unrolled: 1-line block ×42, first 2 shown]
	s_add_u32 s8, s8, 0xfd8
	s_addc_u32 s9, s9, 0
	s_waitcnt vmcnt(5)
	v_pk_mul_f32 v[114:115], v[46:47], v[20:21]
	s_nop 0
	v_mov_b32_e32 v114, v21
	v_pk_mul_f32 v[116:117], v[56:57], v[22:23]
	s_waitcnt vmcnt(4)
	v_mov_b32_e32 v120, v19
	v_mov_b32_e32 v116, v23
	s_waitcnt vmcnt(3)
	v_pk_mul_f32 v[122:123], v[54:55], v[32:33] op_sel:[0,1]
	v_mov_b32_e32 v124, v35
	s_waitcnt vmcnt(2) lgkmcnt(2)
	v_pk_mul_f32 v[126:127], v[62:63], v[28:29] op_sel:[0,1]
	v_mov_b32_e32 v128, v31
	s_waitcnt vmcnt(1)
	v_mov_b32_e32 v132, v43
	s_waitcnt vmcnt(0)
	v_mov_b32_e32 v136, v39
	v_mov_b32_e32 v138, v115
	v_pk_mul_f32 v[114:115], v[46:47], v[114:115]
	s_waitcnt lgkmcnt(1)
	v_pk_mul_f32 v[130:131], v[66:67], v[40:41] op_sel:[0,1]
	s_waitcnt lgkmcnt(0)
	v_pk_mul_f32 v[134:135], v[70:71], v[36:37] op_sel:[0,1]
	v_mov_b32_e32 v140, v117
	v_pk_mul_f32 v[116:117], v[56:57], v[116:117]
	v_pk_mul_f32 v[120:121], v[52:53], v[120:121] op_sel_hi:[1,0]
	v_pk_fma_f32 v[148:149], v[54:55], v[32:33], v[122:123] op_sel:[0,0,1] op_sel_hi:[1,1,0] neg_lo:[0,0,1] neg_hi:[0,0,1]
	v_pk_fma_f32 v[54:55], v[54:55], v[32:33], v[122:123] op_sel:[0,0,1] op_sel_hi:[1,0,0]
	v_pk_mul_f32 v[122:123], v[60:61], v[124:125] op_sel_hi:[1,0]
	v_pk_fma_f32 v[150:151], v[62:63], v[28:29], v[126:127] op_sel:[0,0,1] op_sel_hi:[1,1,0] neg_lo:[0,0,1] neg_hi:[0,0,1]
	v_pk_fma_f32 v[62:63], v[62:63], v[28:29], v[126:127] op_sel:[0,0,1] op_sel_hi:[1,0,0]
	v_pk_mul_f32 v[124:125], v[64:65], v[128:129] op_sel_hi:[1,0]
	v_pk_mul_f32 v[128:129], v[68:69], v[132:133] op_sel_hi:[1,0]
	;; [unrolled: 1-line block ×3, first 2 shown]
	v_pk_fma_f32 v[108:109], v[108:109], v[20:21], v[114:115]
	v_pk_mul_f32 v[118:119], v[58:59], v[16:17]
	v_pk_fma_f32 v[126:127], v[66:67], v[40:41], v[130:131] op_sel:[0,0,1] op_sel_hi:[1,1,0] neg_lo:[0,0,1] neg_hi:[0,0,1]
	v_pk_fma_f32 v[66:67], v[66:67], v[40:41], v[130:131] op_sel:[0,0,1] op_sel_hi:[1,0,0]
	v_pk_fma_f32 v[130:131], v[70:71], v[36:37], v[134:135] op_sel:[0,0,1] op_sel_hi:[1,0,0] neg_lo:[0,0,1] neg_hi:[0,0,1]
	v_pk_fma_f32 v[70:71], v[70:71], v[36:37], v[134:135] op_sel:[0,0,1] op_sel_hi:[1,0,0]
	v_pk_fma_f32 v[134:135], v[46:47], v[20:21], v[138:139] neg_lo:[0,0,1] neg_hi:[0,0,1]
	v_pk_fma_f32 v[110:111], v[110:111], v[22:23], v[116:117]
	v_pk_fma_f32 v[114:115], v[52:53], v[18:19], v[120:121] op_sel:[0,0,1] op_sel_hi:[1,1,0] neg_lo:[0,0,1] neg_hi:[0,0,1]
	v_pk_fma_f32 v[46:47], v[52:53], v[18:19], v[120:121] op_sel:[0,0,1] op_sel_hi:[1,0,0]
	v_mov_b32_e32 v149, v55
	v_pk_fma_f32 v[116:117], v[60:61], v[34:35], v[122:123] op_sel:[0,0,1] op_sel_hi:[1,1,0] neg_lo:[0,0,1] neg_hi:[0,0,1]
	v_pk_fma_f32 v[52:53], v[60:61], v[34:35], v[122:123] op_sel:[0,0,1] op_sel_hi:[1,0,0]
	v_mov_b32_e32 v151, v63
	v_pk_fma_f32 v[60:61], v[64:65], v[30:31], v[124:125] op_sel:[0,0,1] op_sel_hi:[1,1,0] neg_lo:[0,0,1] neg_hi:[0,0,1]
	v_pk_fma_f32 v[54:55], v[64:65], v[30:31], v[124:125] op_sel:[0,0,1] op_sel_hi:[1,0,0]
	v_pk_fma_f32 v[62:63], v[68:69], v[42:43], v[128:129] op_sel:[0,0,1] op_sel_hi:[1,0,0] neg_lo:[0,0,1] neg_hi:[0,0,1]
	v_pk_fma_f32 v[64:65], v[68:69], v[42:43], v[128:129] op_sel:[0,0,1] op_sel_hi:[1,0,0]
	;; [unrolled: 2-line block ×3, first 2 shown]
	v_mov_b32_e32 v49, v108
	v_mov_b32_e32 v118, v17
	;; [unrolled: 1-line block ×4, first 2 shown]
	v_pk_add_f32 v[46:47], v[48:49], v[72:73]
	v_pk_mul_f32 v[118:119], v[58:59], v[118:119]
	v_pk_fma_f32 v[56:57], v[56:57], v[22:23], v[140:141] neg_lo:[0,0,1] neg_hi:[0,0,1]
	v_pk_fma_f32 v[58:59], v[58:59], v[16:17], v[142:143] neg_lo:[0,0,1] neg_hi:[0,0,1]
	v_mov_b32_e32 v117, v53
	v_mov_b32_e32 v46, v73
	v_mov_b32_e32 v53, v110
	v_mov_b32_e32 v127, v67
	v_mov_b32_e32 v67, v71
	v_mov_b32_e32 v123, v73
	v_mov_b32_e32 v136, v56
	v_mov_b32_e32 v138, v58
	v_pk_add_f32 v[152:153], v[108:109], v[46:47] neg_lo:[0,1] neg_hi:[0,1]
	v_pk_add_f32 v[146:147], v[56:57], v[130:131]
	v_pk_add_f32 v[52:53], v[52:53], v[70:71]
	v_pk_add_f32 v[72:73], v[56:57], v[130:131] neg_lo:[0,1] neg_hi:[0,1]
	v_mov_b32_e32 v46, v71
	v_pk_add_f32 v[128:129], v[58:59], v[62:63]
	v_pk_add_f32 v[70:71], v[58:59], v[62:63] neg_lo:[0,1] neg_hi:[0,1]
	v_pk_add_f32 v[56:57], v[44:45], v[134:135]
	v_pk_add_f32 v[58:59], v[44:45], v[48:49]
	v_pk_fma_f32 v[112:113], v[112:113], v[16:17], v[118:119]
	v_mov_b32_e32 v137, v110
	v_mov_b32_e32 v57, v59
	;; [unrolled: 1-line block ×3, first 2 shown]
	v_pk_add_f32 v[56:57], v[56:57], v[136:137]
	v_mov_b32_e32 v61, v55
	v_pk_add_f32 v[56:57], v[56:57], v[138:139]
	v_mov_b32_e32 v118, v62
	v_pk_add_f32 v[56:57], v[56:57], v[114:115]
	v_mov_b32_e32 v119, v65
	v_pk_add_f32 v[56:57], v[56:57], v[148:149]
	v_mov_b32_e32 v122, v68
	v_pk_add_f32 v[56:57], v[56:57], v[116:117]
	v_pk_add_f32 v[144:145], v[134:135], v[68:69]
	;; [unrolled: 1-line block ×3, first 2 shown]
	v_pk_add_f32 v[68:69], v[134:135], v[68:69] neg_lo:[0,1] neg_hi:[0,1]
	v_pk_add_f32 v[56:57], v[56:57], v[60:61]
	v_mov_b32_e32 v66, v130
	v_pk_add_f32 v[56:57], v[56:57], v[126:127]
	v_pk_add_f32 v[154:155], v[110:111], v[46:47] neg_lo:[0,1] neg_hi:[0,1]
	v_mov_b32_e32 v46, v65
	v_pk_add_f32 v[56:57], v[56:57], v[118:119]
	v_mov_b32_e32 v145, v68
	v_pk_add_f32 v[132:133], v[112:113], v[46:47] neg_lo:[0,1] neg_hi:[0,1]
	v_pk_add_f32 v[56:57], v[56:57], v[66:67]
	v_mov_b32_e32 v46, v152
	v_pk_mul_f32 v[58:59], v[144:145], s[30:31]
	v_pk_add_f32 v[124:125], v[148:149], v[60:61]
	v_pk_add_f32 v[110:111], v[148:149], v[60:61] neg_lo:[0,1] neg_hi:[0,1]
	v_pk_add_f32 v[122:123], v[56:57], v[122:123]
	v_pk_fma_f32 v[60:61], v[152:153], s[24:25], v[58:59] neg_lo:[1,0,0] neg_hi:[1,0,0]
	v_pk_fma_f32 v[56:57], v[46:47], s[24:25], v[58:59]
	v_mov_b32_e32 v147, v72
	v_mov_b32_e32 v55, v112
	;; [unrolled: 1-line block ×4, first 2 shown]
	v_pk_mul_f32 v[62:63], v[146:147], s[34:35]
	v_pk_add_f32 v[54:55], v[54:55], v[64:65]
	v_pk_add_f32 v[64:65], v[44:45], v[60:61]
	v_pk_fma_f32 v[66:67], v[154:155], s[12:13], v[62:63] neg_lo:[1,0,0] neg_hi:[1,0,0]
	v_pk_fma_f32 v[60:61], v[52:53], s[12:13], v[62:63]
	v_mov_b32_e32 v129, v70
	v_mov_b32_e32 v67, v61
	v_pk_add_f32 v[68:69], v[66:67], v[64:65]
	v_mov_b32_e32 v54, v132
	v_pk_mul_f32 v[66:67], v[128:129], s[36:37]
	v_pk_add_f32 v[130:131], v[114:115], v[126:127]
	v_pk_fma_f32 v[70:71], v[132:133], s[20:21], v[66:67] neg_lo:[1,0,0] neg_hi:[1,0,0]
	v_pk_fma_f32 v[64:65], v[54:55], s[20:21], v[66:67]
	v_pk_add_f32 v[108:109], v[114:115], v[126:127] neg_lo:[0,1] neg_hi:[0,1]
	v_mov_b32_e32 v71, v65
	v_pk_add_f32 v[112:113], v[70:71], v[68:69]
	v_mov_b32_e32 v69, v131
	v_mov_b32_e32 v131, v108
	;; [unrolled: 1-line block ×3, first 2 shown]
	v_pk_mul_f32 v[72:73], v[130:131], s[40:41]
	v_pk_add_f32 v[120:121], v[116:117], v[150:151]
	v_pk_fma_f32 v[108:109], v[68:69], s[10:11], v[72:73] neg_lo:[1,0,0] neg_hi:[1,0,0]
	v_pk_fma_f32 v[70:71], v[68:69], s[10:11], v[72:73]
	v_pk_add_f32 v[140:141], v[116:117], v[150:151] neg_lo:[0,1] neg_hi:[0,1]
	v_mov_b32_e32 v109, v71
	v_pk_add_f32 v[114:115], v[108:109], v[112:113]
	v_mov_b32_e32 v109, v125
	v_mov_b32_e32 v125, v110
	v_mov_b32_e32 v108, v111
	v_pk_mul_f32 v[112:113], v[124:125], s[42:43]
	v_pk_mul_f32 v[136:137], v[144:145], s[34:35]
	v_pk_fma_f32 v[116:117], v[108:109], s[14:15], v[112:113] neg_lo:[1,0,0] neg_hi:[1,0,0]
	v_pk_fma_f32 v[110:111], v[108:109], s[14:15], v[112:113]
	v_pk_fma_f32 v[162:163], v[152:153], s[12:13], v[136:137] neg_lo:[1,0,0] neg_hi:[1,0,0]
	v_mov_b32_e32 v117, v111
	v_pk_add_f32 v[126:127], v[116:117], v[114:115]
	v_mov_b32_e32 v115, v121
	v_mov_b32_e32 v121, v140
	;; [unrolled: 1-line block ×3, first 2 shown]
	v_pk_mul_f32 v[118:119], v[120:121], s[44:45]
	v_pk_mul_f32 v[140:141], v[146:147], s[40:41]
	v_pk_fma_f32 v[134:135], v[114:115], s[18:19], v[118:119] neg_lo:[1,0,0] neg_hi:[1,0,0]
	v_pk_fma_f32 v[116:117], v[114:115], s[18:19], v[118:119]
	v_pk_fma_f32 v[164:165], v[154:155], s[10:11], v[140:141] neg_lo:[1,0,0] neg_hi:[1,0,0]
	v_mov_b32_e32 v135, v117
	v_pk_add_f32 v[126:127], v[134:135], v[126:127]
	ds_write2_b64 v89, v[122:123], v[126:127] offset1:39
	v_pk_fma_f32 v[122:123], v[46:47], s[12:13], v[136:137]
	v_pk_fma_f32 v[126:127], v[52:53], s[10:11], v[140:141]
	v_mov_b32_e32 v163, v123
	v_pk_mul_f32 v[142:143], v[128:129], s[44:45]
	v_mov_b32_e32 v165, v127
	v_pk_fma_f32 v[166:167], v[132:133], s[18:19], v[142:143] neg_lo:[1,0,0] neg_hi:[1,0,0]
	v_pk_fma_f32 v[134:135], v[54:55], s[18:19], v[142:143]
	v_pk_mul_f32 v[150:151], v[130:131], s[28:29]
	v_pk_add_f32 v[162:163], v[44:45], v[162:163]
	v_mov_b32_e32 v167, v135
	v_pk_fma_f32 v[168:169], v[68:69], s[26:27], v[150:151] neg_lo:[1,0,0] neg_hi:[1,0,0]
	v_pk_fma_f32 v[138:139], v[68:69], s[26:27], v[150:151]
	v_pk_mul_f32 v[156:157], v[124:125], s[48:49]
	v_pk_add_f32 v[162:163], v[164:165], v[162:163]
	;; [unrolled: 5-line block ×3, first 2 shown]
	v_mov_b32_e32 v171, v149
	v_pk_fma_f32 v[172:173], v[114:115], s[22:23], v[160:161] neg_lo:[1,0,0] neg_hi:[1,0,0]
	v_pk_fma_f32 v[158:159], v[114:115], s[22:23], v[160:161]
	v_pk_add_f32 v[162:163], v[168:169], v[162:163]
	v_mov_b32_e32 v173, v159
	v_pk_add_f32 v[162:163], v[170:171], v[162:163]
	v_pk_mul_f32 v[168:169], v[144:145], s[36:37]
	v_pk_add_f32 v[194:195], v[172:173], v[162:163]
	v_pk_fma_f32 v[196:197], v[152:153], s[20:21], v[168:169] neg_lo:[1,0,0] neg_hi:[1,0,0]
	v_pk_fma_f32 v[162:163], v[46:47], s[20:21], v[168:169]
	v_pk_mul_f32 v[172:173], v[146:147], s[44:45]
	v_mov_b32_e32 v197, v163
	v_pk_fma_f32 v[198:199], v[154:155], s[18:19], v[172:173] neg_lo:[1,0,0] neg_hi:[1,0,0]
	v_pk_fma_f32 v[164:165], v[52:53], s[18:19], v[172:173]
	v_pk_mul_f32 v[176:177], v[128:129], s[38:39]
	v_mov_b32_e32 v199, v165
	v_pk_fma_f32 v[200:201], v[132:133], s[46:47], v[176:177] neg_lo:[1,0,0] neg_hi:[1,0,0]
	v_pk_fma_f32 v[166:167], v[54:55], s[46:47], v[176:177]
	v_pk_mul_f32 v[180:181], v[130:131], s[50:51]
	v_pk_add_f32 v[196:197], v[44:45], v[196:197]
	v_mov_b32_e32 v201, v167
	v_pk_fma_f32 v[202:203], v[68:69], s[22:23], v[180:181] neg_lo:[1,0,0] neg_hi:[1,0,0]
	v_pk_fma_f32 v[170:171], v[68:69], s[22:23], v[180:181]
	v_pk_mul_f32 v[182:183], v[124:125], s[34:35]
	v_pk_add_f32 v[196:197], v[198:199], v[196:197]
	;; [unrolled: 5-line block ×3, first 2 shown]
	v_mov_b32_e32 v205, v175
	v_pk_fma_f32 v[206:207], v[114:115], s[14:15], v[184:185] neg_lo:[1,0,0] neg_hi:[1,0,0]
	v_pk_fma_f32 v[178:179], v[114:115], s[14:15], v[184:185]
	v_pk_add_f32 v[196:197], v[202:203], v[196:197]
	v_mov_b32_e32 v207, v179
	v_pk_add_f32 v[196:197], v[204:205], v[196:197]
	v_pk_mul_f32 v[200:201], v[146:147], s[28:29]
	v_pk_add_f32 v[196:197], v[206:207], v[196:197]
	ds_write2_b64 v89, v[194:195], v[196:197] offset0:78 offset1:117
	v_pk_mul_f32 v[194:195], v[144:145], s[40:41]
	v_pk_fma_f32 v[202:203], v[154:155], s[26:27], v[200:201] neg_lo:[1,0,0] neg_hi:[1,0,0]
	v_pk_fma_f32 v[196:197], v[152:153], s[10:11], v[194:195] neg_lo:[1,0,0] neg_hi:[1,0,0]
	v_pk_fma_f32 v[198:199], v[46:47], s[10:11], v[194:195]
	v_pk_fma_f32 v[204:205], v[52:53], s[26:27], v[200:201]
	v_mov_b32_e32 v197, v199
	v_mov_b32_e32 v203, v205
	v_pk_mul_f32 v[206:207], v[128:129], s[50:51]
	v_pk_add_f32 v[196:197], v[44:45], v[196:197]
	v_pk_fma_f32 v[208:209], v[132:133], s[22:23], v[206:207] neg_lo:[1,0,0] neg_hi:[1,0,0]
	v_pk_add_f32 v[196:197], v[202:203], v[196:197]
	v_pk_fma_f32 v[202:203], v[54:55], s[22:23], v[206:207]
	s_mov_b32 s38, 0x3e750f2a
	v_mov_b32_e32 v209, v203
	v_pk_add_f32 v[196:197], v[208:209], v[196:197]
	v_pk_mul_f32 v[208:209], v[130:131], s[36:37]
	s_mov_b32 s53, s38
	v_pk_fma_f32 v[210:211], v[68:69], s[20:21], v[208:209] neg_lo:[1,0,0] neg_hi:[1,0,0]
	v_pk_fma_f32 v[212:213], v[68:69], s[20:21], v[208:209]
	s_mov_b32 s39, s19
	v_mov_b32_e32 v211, v213
	v_pk_add_f32 v[196:197], v[210:211], v[196:197]
	v_pk_mul_f32 v[210:211], v[124:125], s[52:53]
	s_mov_b32 s28, 0x3f52af12
	v_pk_fma_f32 v[214:215], v[108:109], s[38:39], v[210:211] neg_lo:[1,0,0] neg_hi:[1,0,0]
	v_pk_fma_f32 v[216:217], v[108:109], s[38:39], v[210:211]
	s_mov_b32 s55, s28
	v_mov_b32_e32 v215, v217
	v_pk_add_f32 v[196:197], v[214:215], v[196:197]
	s_mov_b32 s29, s13
	v_pk_mul_f32 v[214:215], v[120:121], s[54:55]
	v_pk_mul_f32 v[226:227], v[146:147], s[48:49]
	v_pk_fma_f32 v[218:219], v[114:115], s[28:29], v[214:215] neg_lo:[1,0,0] neg_hi:[1,0,0]
	v_pk_fma_f32 v[220:221], v[114:115], s[28:29], v[214:215]
	v_pk_fma_f32 v[228:229], v[154:155], s[16:17], v[226:227] neg_lo:[1,0,0] neg_hi:[1,0,0]
	v_mov_b32_e32 v219, v221
	v_pk_add_f32 v[196:197], v[218:219], v[196:197]
	v_pk_mul_f32 v[218:219], v[144:145], s[42:43]
	v_pk_fma_f32 v[230:231], v[52:53], s[16:17], v[226:227]
	v_pk_fma_f32 v[222:223], v[152:153], s[14:15], v[218:219] neg_lo:[1,0,0] neg_hi:[1,0,0]
	v_pk_fma_f32 v[224:225], v[46:47], s[14:15], v[218:219]
	v_mov_b32_e32 v229, v231
	v_mov_b32_e32 v223, v225
	v_pk_add_f32 v[222:223], v[44:45], v[222:223]
	v_pk_mul_f32 v[144:145], v[144:145], s[44:45]
	v_pk_add_f32 v[222:223], v[228:229], v[222:223]
	v_pk_mul_f32 v[228:229], v[128:129], s[34:35]
	v_pk_fma_f32 v[152:153], v[152:153], s[18:19], v[144:145] neg_lo:[1,0,0] neg_hi:[1,0,0]
	v_pk_fma_f32 v[232:233], v[132:133], s[12:13], v[228:229] neg_lo:[1,0,0] neg_hi:[1,0,0]
	v_pk_fma_f32 v[234:235], v[54:55], s[12:13], v[228:229]
	v_pk_mul_f32 v[146:147], v[146:147], s[50:51]
	v_mov_b32_e32 v233, v235
	v_pk_add_f32 v[222:223], v[232:233], v[222:223]
	v_pk_mul_f32 v[232:233], v[130:131], s[52:53]
	v_pk_fma_f32 v[154:155], v[154:155], s[22:23], v[146:147] neg_lo:[1,0,0] neg_hi:[1,0,0]
	v_pk_fma_f32 v[236:237], v[68:69], s[38:39], v[232:233] neg_lo:[1,0,0] neg_hi:[1,0,0]
	v_pk_fma_f32 v[238:239], v[68:69], s[38:39], v[232:233]
	v_pk_mul_f32 v[128:129], v[128:129], s[42:43]
	v_mov_b32_e32 v237, v239
	;; [unrolled: 7-line block ×3, first 2 shown]
	v_pk_add_f32 v[222:223], v[240:241], v[222:223]
	v_pk_mul_f32 v[240:241], v[120:121], s[40:41]
	v_pk_mul_f32 v[124:125], v[124:125], s[40:41]
	v_pk_fma_f32 v[244:245], v[114:115], s[10:11], v[240:241] neg_lo:[1,0,0] neg_hi:[1,0,0]
	v_pk_fma_f32 v[246:247], v[114:115], s[10:11], v[240:241]
	v_pk_fma_f32 v[248:249], v[108:109], s[10:11], v[124:125]
	v_mov_b32_e32 v245, v247
	v_pk_add_f32 v[222:223], v[244:245], v[222:223]
	ds_write2_b64 v89, v[196:197], v[222:223] offset0:156 offset1:195
	v_pk_fma_f32 v[196:197], v[46:47], s[18:19], v[144:145]
	v_pk_fma_f32 v[222:223], v[52:53], s[22:23], v[146:147]
	v_mov_b32_e32 v153, v197
	v_mov_b32_e32 v155, v223
	v_pk_add_f32 v[152:153], v[44:45], v[152:153]
	v_pk_fma_f32 v[244:245], v[68:69], s[28:29], v[130:131]
	v_pk_add_f32 v[152:153], v[154:155], v[152:153]
	v_pk_fma_f32 v[154:155], v[54:55], s[14:15], v[128:129]
	v_pk_mul_f32 v[120:121], v[120:121], s[48:49]
	v_mov_b32_e32 v133, v155
	v_pk_add_f32 v[132:133], v[132:133], v[152:153]
	v_pk_fma_f32 v[152:153], v[68:69], s[28:29], v[130:131] neg_lo:[1,0,0] neg_hi:[1,0,0]
	v_pk_fma_f32 v[144:145], v[46:47], s[18:19], v[144:145] neg_lo:[0,0,1] neg_hi:[0,0,1]
	v_mov_b32_e32 v153, v245
	v_pk_add_f32 v[132:133], v[152:153], v[132:133]
	v_pk_fma_f32 v[152:153], v[108:109], s[10:11], v[124:125] neg_lo:[1,0,0] neg_hi:[1,0,0]
	v_pk_fma_f32 v[250:251], v[114:115], s[16:17], v[120:121]
	v_mov_b32_e32 v153, v249
	v_pk_add_f32 v[132:133], v[152:153], v[132:133]
	v_pk_fma_f32 v[152:153], v[114:115], s[16:17], v[120:121] neg_lo:[1,0,0] neg_hi:[1,0,0]
	v_mov_b32_e32 v197, v145
	v_pk_fma_f32 v[144:145], v[52:53], s[22:23], v[146:147] neg_lo:[0,0,1] neg_hi:[0,0,1]
	v_pk_fma_f32 v[120:121], v[114:115], s[16:17], v[120:121] neg_lo:[0,0,1] neg_hi:[0,0,1]
	v_mov_b32_e32 v153, v251
	v_mov_b32_e32 v223, v145
	v_pk_fma_f32 v[128:129], v[54:55], s[14:15], v[128:129] neg_lo:[0,0,1] neg_hi:[0,0,1]
	v_mov_b32_e32 v251, v121
	v_pk_add_f32 v[120:121], v[44:45], v[196:197]
	v_mov_b32_e32 v155, v129
	v_pk_fma_f32 v[128:129], v[68:69], s[28:29], v[130:131] neg_lo:[0,0,1] neg_hi:[0,0,1]
	v_pk_add_f32 v[120:121], v[222:223], v[120:121]
	v_mov_b32_e32 v245, v129
	v_pk_fma_f32 v[124:125], v[108:109], s[10:11], v[124:125] neg_lo:[0,0,1] neg_hi:[0,0,1]
	v_pk_add_f32 v[120:121], v[154:155], v[120:121]
	v_mov_b32_e32 v249, v125
	v_pk_add_f32 v[120:121], v[244:245], v[120:121]
	v_pk_add_f32 v[132:133], v[152:153], v[132:133]
	;; [unrolled: 1-line block ×3, first 2 shown]
	v_pk_fma_f32 v[124:125], v[46:47], s[10:11], v[194:195] neg_lo:[0,0,1] neg_hi:[0,0,1]
	v_pk_add_f32 v[120:121], v[250:251], v[120:121]
	ds_write2_b64 v192, v[132:133], v[120:121] offset0:106 offset1:145
	v_pk_fma_f32 v[120:121], v[46:47], s[14:15], v[218:219] neg_lo:[0,0,1] neg_hi:[0,0,1]
	v_mov_b32_e32 v199, v125
	v_mov_b32_e32 v225, v121
	v_pk_fma_f32 v[120:121], v[52:53], s[16:17], v[226:227] neg_lo:[0,0,1] neg_hi:[0,0,1]
	v_pk_fma_f32 v[124:125], v[52:53], s[26:27], v[200:201] neg_lo:[0,0,1] neg_hi:[0,0,1]
	v_mov_b32_e32 v231, v121
	v_pk_fma_f32 v[120:121], v[54:55], s[12:13], v[228:229] neg_lo:[0,0,1] neg_hi:[0,0,1]
	v_mov_b32_e32 v205, v125
	;; [unrolled: 2-line block ×9, first 2 shown]
	v_pk_add_f32 v[120:121], v[44:45], v[224:225]
	v_mov_b32_e32 v221, v125
	v_pk_add_f32 v[124:125], v[44:45], v[198:199]
	v_pk_add_f32 v[120:121], v[230:231], v[120:121]
	v_pk_add_f32 v[124:125], v[204:205], v[124:125]
	v_pk_add_f32 v[120:121], v[234:235], v[120:121]
	v_pk_add_f32 v[124:125], v[202:203], v[124:125]
	v_pk_add_f32 v[120:121], v[238:239], v[120:121]
	v_pk_add_f32 v[124:125], v[212:213], v[124:125]
	v_pk_add_f32 v[120:121], v[242:243], v[120:121]
	v_pk_add_f32 v[124:125], v[216:217], v[124:125]
	v_pk_add_f32 v[120:121], v[246:247], v[120:121]
	v_pk_add_f32 v[124:125], v[220:221], v[124:125]
	ds_write2_b64 v193, v[120:121], v[124:125] offset0:56 offset1:95
	v_pk_fma_f32 v[120:121], v[46:47], s[20:21], v[168:169] neg_lo:[0,0,1] neg_hi:[0,0,1]
	v_pk_fma_f32 v[124:125], v[46:47], s[12:13], v[136:137] neg_lo:[0,0,1] neg_hi:[0,0,1]
	v_mov_b32_e32 v163, v121
	v_pk_fma_f32 v[120:121], v[52:53], s[18:19], v[172:173] neg_lo:[0,0,1] neg_hi:[0,0,1]
	v_pk_fma_f32 v[46:47], v[46:47], s[24:25], v[58:59] neg_lo:[0,0,1] neg_hi:[0,0,1]
	v_mov_b32_e32 v165, v121
	v_pk_fma_f32 v[120:121], v[54:55], s[46:47], v[176:177] neg_lo:[0,0,1] neg_hi:[0,0,1]
	v_mov_b32_e32 v123, v125
	v_mov_b32_e32 v167, v121
	v_pk_fma_f32 v[120:121], v[68:69], s[22:23], v[180:181] neg_lo:[0,0,1] neg_hi:[0,0,1]
	v_pk_fma_f32 v[124:125], v[52:53], s[10:11], v[140:141] neg_lo:[0,0,1] neg_hi:[0,0,1]
	v_mov_b32_e32 v171, v121
	v_pk_fma_f32 v[120:121], v[108:109], s[12:13], v[182:183] neg_lo:[0,0,1] neg_hi:[0,0,1]
	v_mov_b32_e32 v57, v47
	v_mov_b32_e32 v175, v121
	v_pk_fma_f32 v[120:121], v[114:115], s[14:15], v[184:185] neg_lo:[0,0,1] neg_hi:[0,0,1]
	v_pk_fma_f32 v[46:47], v[52:53], s[12:13], v[62:63] neg_lo:[0,0,1] neg_hi:[0,0,1]
	v_mov_b32_e32 v179, v121
	v_pk_add_f32 v[120:121], v[44:45], v[162:163]
	v_mov_b32_e32 v127, v125
	v_pk_fma_f32 v[124:125], v[54:55], s[18:19], v[142:143] neg_lo:[0,0,1] neg_hi:[0,0,1]
	v_pk_add_f32 v[122:123], v[44:45], v[122:123]
	v_pk_add_f32 v[44:45], v[44:45], v[56:57]
	v_mov_b32_e32 v61, v47
	v_pk_fma_f32 v[46:47], v[54:55], s[20:21], v[66:67] neg_lo:[0,0,1] neg_hi:[0,0,1]
	v_pk_add_f32 v[120:121], v[164:165], v[120:121]
	v_mov_b32_e32 v135, v125
	v_pk_fma_f32 v[124:125], v[68:69], s[26:27], v[150:151] neg_lo:[0,0,1] neg_hi:[0,0,1]
	v_pk_add_f32 v[122:123], v[126:127], v[122:123]
	v_pk_add_f32 v[44:45], v[60:61], v[44:45]
	v_mov_b32_e32 v65, v47
	v_pk_fma_f32 v[46:47], v[68:69], s[10:11], v[72:73] neg_lo:[0,0,1] neg_hi:[0,0,1]
	;; [unrolled: 7-line block ×4, first 2 shown]
	v_pk_add_f32 v[120:121], v[174:175], v[120:121]
	v_mov_b32_e32 v159, v125
	v_pk_add_f32 v[122:123], v[148:149], v[122:123]
	v_pk_add_f32 v[44:45], v[110:111], v[44:45]
	v_mov_b32_e32 v117, v47
	v_pk_add_f32 v[120:121], v[178:179], v[120:121]
	v_pk_add_f32 v[122:123], v[158:159], v[122:123]
	;; [unrolled: 1-line block ×3, first 2 shown]
	ds_write2_b64 v193, v[120:121], v[122:123] offset0:134 offset1:173
	ds_write_b64 v89, v[44:45] offset:3744
	s_waitcnt lgkmcnt(0)
	s_barrier
	global_load_dwordx2 v[50:51], v[50:51], off offset:4056
	s_nop 0
	global_load_dwordx2 v[52:53], v48, s[8:9] offset:312
	global_load_dwordx2 v[54:55], v48, s[8:9] offset:624
	;; [unrolled: 1-line block ×12, first 2 shown]
	ds_read2_b64 v[44:47], v89 offset1:39
	s_mov_b32 s8, s13
	s_mov_b32 s48, s11
	;; [unrolled: 1-line block ×5, first 2 shown]
	s_waitcnt vmcnt(12) lgkmcnt(0)
	v_mul_f32_e32 v48, v45, v51
	v_mul_f32_e32 v111, v44, v51
	v_fma_f32 v110, v44, v50, -v48
	v_fmac_f32_e32 v111, v45, v50
	ds_read2_b64 v[48:51], v89 offset0:78 offset1:117
	s_waitcnt vmcnt(11)
	v_mul_f32_e32 v44, v47, v53
	v_mul_f32_e32 v45, v46, v53
	v_fma_f32 v44, v46, v52, -v44
	v_fmac_f32_e32 v45, v47, v52
	ds_write2_b64 v89, v[110:111], v[44:45] offset1:39
	s_waitcnt vmcnt(10) lgkmcnt(1)
	v_mul_f32_e32 v44, v49, v55
	v_fma_f32 v52, v48, v54, -v44
	ds_read2_b64 v[44:47], v89 offset0:156 offset1:195
	v_mul_f32_e32 v53, v48, v55
	v_fmac_f32_e32 v53, v49, v54
	s_waitcnt vmcnt(9)
	v_mul_f32_e32 v48, v51, v57
	v_mul_f32_e32 v49, v50, v57
	v_fma_f32 v48, v50, v56, -v48
	v_fmac_f32_e32 v49, v51, v56
	ds_write2_b64 v89, v[52:53], v[48:49] offset0:78 offset1:117
	s_waitcnt vmcnt(8) lgkmcnt(1)
	v_mul_f32_e32 v48, v45, v59
	v_fma_f32 v52, v44, v58, -v48
	ds_read2_b64 v[48:51], v192 offset0:106 offset1:145
	v_mul_f32_e32 v53, v44, v59
	v_fmac_f32_e32 v53, v45, v58
	s_waitcnt vmcnt(7)
	v_mul_f32_e32 v44, v47, v61
	v_mul_f32_e32 v45, v46, v61
	v_fma_f32 v44, v46, v60, -v44
	v_fmac_f32_e32 v45, v47, v60
	ds_write2_b64 v89, v[52:53], v[44:45] offset0:156 offset1:195
	;; [unrolled: 12-line block ×3, first 2 shown]
	s_waitcnt vmcnt(4) lgkmcnt(1)
	v_mul_f32_e32 v48, v45, v67
	v_fma_f32 v52, v44, v66, -v48
	ds_read2_b64 v[48:51], v193 offset0:134 offset1:173
	v_mul_f32_e32 v53, v44, v67
	v_fmac_f32_e32 v53, v45, v66
	s_waitcnt vmcnt(3)
	v_mul_f32_e32 v44, v47, v69
	v_mul_f32_e32 v45, v46, v69
	v_fma_f32 v44, v46, v68, -v44
	v_fmac_f32_e32 v45, v47, v68
	ds_read_b64 v[46:47], v89 offset:3744
	ds_write2_b64 v193, v[52:53], v[44:45] offset0:56 offset1:95
	s_waitcnt vmcnt(2) lgkmcnt(2)
	v_mul_f32_e32 v44, v49, v71
	v_mul_f32_e32 v45, v48, v71
	v_fma_f32 v44, v48, v70, -v44
	v_fmac_f32_e32 v45, v49, v70
	s_waitcnt vmcnt(1)
	v_mul_f32_e32 v48, v51, v73
	v_mul_f32_e32 v49, v50, v73
	v_fma_f32 v48, v50, v72, -v48
	v_fmac_f32_e32 v49, v51, v72
	ds_write2_b64 v193, v[44:45], v[48:49] offset0:134 offset1:173
	s_waitcnt vmcnt(0) lgkmcnt(2)
	v_mul_f32_e32 v44, v47, v109
	v_mul_f32_e32 v45, v46, v109
	v_fma_f32 v44, v46, v108, -v44
	v_fmac_f32_e32 v45, v47, v108
	ds_write_b64 v89, v[44:45] offset:3744
	s_waitcnt lgkmcnt(0)
	s_barrier
	ds_read2_b64 v[44:47], v89 offset1:39
	ds_read2_b64 v[68:71], v89 offset0:78 offset1:117
	ds_read2_b64 v[128:131], v89 offset0:156 offset1:195
	ds_read_b64 v[144:145], v89 offset:3744
	ds_read2_b64 v[132:135], v192 offset0:106 offset1:145
	ds_read2_b64 v[136:139], v193 offset0:56 offset1:95
	;; [unrolled: 1-line block ×3, first 2 shown]
	s_waitcnt lgkmcnt(6)
	v_pk_add_f32 v[146:147], v[44:45], v[46:47]
	s_waitcnt lgkmcnt(3)
	v_pk_add_f32 v[110:111], v[46:47], v[144:145] neg_lo:[0,1] neg_hi:[0,1]
	v_pk_add_f32 v[72:73], v[144:145], v[46:47]
	v_pk_mul_f32 v[46:47], v[110:111], s[12:13] op_sel_hi:[1,0]
	s_waitcnt lgkmcnt(0)
	v_pk_add_f32 v[112:113], v[142:143], v[68:69]
	v_pk_add_f32 v[114:115], v[68:69], v[142:143] neg_lo:[0,1] neg_hi:[0,1]
	v_pk_add_f32 v[68:69], v[146:147], v[68:69]
	v_pk_fma_f32 v[50:51], v[72:73], s[8:9], v[46:47] op_sel:[0,0,1] op_sel_hi:[1,0,0]
	v_pk_add_f32 v[68:69], v[68:69], v[70:71]
	v_pk_fma_f32 v[48:49], v[72:73], s[8:9], v[46:47] op_sel:[0,0,1] op_sel_hi:[1,0,0] neg_lo:[0,0,1] neg_hi:[0,0,1]
	v_pk_add_f32 v[68:69], v[68:69], v[128:129]
	v_pk_mul_f32 v[46:47], v[114:115], s[10:11] op_sel_hi:[1,0]
	v_pk_add_f32 v[68:69], v[68:69], v[130:131]
	v_pk_add_f32 v[118:119], v[70:71], v[140:141] neg_lo:[0,1] neg_hi:[0,1]
	v_pk_add_f32 v[68:69], v[68:69], v[132:133]
	v_pk_fma_f32 v[54:55], v[112:113], s[48:49], v[46:47] op_sel:[0,0,1] op_sel_hi:[1,0,0]
	v_pk_add_f32 v[68:69], v[68:69], v[134:135]
	v_pk_fma_f32 v[52:53], v[112:113], s[48:49], v[46:47] op_sel:[0,0,1] op_sel_hi:[1,0,0] neg_lo:[0,0,1] neg_hi:[0,0,1]
	v_pk_add_f32 v[68:69], v[68:69], v[136:137]
	v_pk_add_f32 v[116:117], v[140:141], v[70:71]
	;; [unrolled: 1-line block ×3, first 2 shown]
	v_pk_mul_f32 v[46:47], v[118:119], s[18:19] op_sel_hi:[1,0]
	v_pk_add_f32 v[122:123], v[128:129], v[138:139] neg_lo:[0,1] neg_hi:[0,1]
	v_pk_add_f32 v[68:69], v[68:69], v[140:141]
	v_pk_fma_f32 v[58:59], v[116:117], s[54:55], v[46:47] op_sel:[0,0,1] op_sel_hi:[1,0,0]
	v_pk_fma_f32 v[56:57], v[116:117], s[54:55], v[46:47] op_sel:[0,0,1] op_sel_hi:[1,0,0] neg_lo:[0,0,1] neg_hi:[0,0,1]
	v_pk_add_f32 v[120:121], v[138:139], v[128:129]
	v_pk_mul_f32 v[46:47], v[122:123], s[26:27] op_sel_hi:[1,0]
	v_pk_add_f32 v[126:127], v[130:131], v[136:137] neg_lo:[0,1] neg_hi:[0,1]
	v_pk_add_f32 v[68:69], v[68:69], v[142:143]
	v_mov_b32_e32 v148, v50
	v_mov_b32_e32 v149, v49
	v_pk_fma_f32 v[62:63], v[120:121], s[52:53], v[46:47] op_sel:[0,0,1] op_sel_hi:[1,0,0]
	v_pk_fma_f32 v[60:61], v[120:121], s[52:53], v[46:47] op_sel:[0,0,1] op_sel_hi:[1,0,0] neg_lo:[0,0,1] neg_hi:[0,0,1]
	v_pk_add_f32 v[124:125], v[136:137], v[130:131]
	v_pk_mul_f32 v[46:47], v[126:127], s[16:17] op_sel_hi:[1,0]
	v_pk_add_f32 v[128:129], v[68:69], v[144:145]
	v_mov_b32_e32 v68, v72
	v_mov_b32_e32 v69, v110
	;; [unrolled: 1-line block ×4, first 2 shown]
	v_pk_fma_f32 v[66:67], v[124:125], s[50:51], v[46:47] op_sel:[0,0,1] op_sel_hi:[1,0,0]
	v_pk_fma_f32 v[64:65], v[124:125], s[50:51], v[46:47] op_sel:[0,0,1] op_sel_hi:[1,0,0] neg_lo:[0,0,1] neg_hi:[0,0,1]
	v_pk_add_f32 v[46:47], v[134:135], v[132:133]
	v_pk_add_f32 v[108:109], v[132:133], v[134:135] neg_lo:[0,1] neg_hi:[0,1]
	v_mov_b32_e32 v130, v111
	v_mov_b32_e32 v131, v73
	v_pk_mul_f32 v[132:133], v[68:69], s[30:31]
	v_pk_add_f32 v[68:69], v[44:45], v[148:149]
	v_mov_b32_e32 v70, v112
	v_mov_b32_e32 v71, v114
	;; [unrolled: 1-line block ×4, first 2 shown]
	v_pk_fma_f32 v[158:159], v[130:131], s[24:25], v[132:133] neg_lo:[1,0,0] neg_hi:[1,0,0]
	v_pk_fma_f32 v[134:135], v[130:131], s[24:25], v[132:133]
	v_mov_b32_e32 v136, v115
	v_mov_b32_e32 v137, v113
	v_pk_mul_f32 v[138:139], v[70:71], s[34:35]
	v_pk_add_f32 v[68:69], v[150:151], v[68:69]
	v_mov_b32_e32 v70, v116
	v_mov_b32_e32 v71, v118
	v_pk_fma_f32 v[130:131], v[130:131], s[24:25], v[132:133] neg_lo:[0,0,1] neg_hi:[0,0,1]
	v_mov_b32_e32 v154, v62
	v_mov_b32_e32 v155, v61
	;; [unrolled: 1-line block ×3, first 2 shown]
	v_pk_fma_f32 v[160:161], v[136:137], s[12:13], v[138:139] neg_lo:[1,0,0] neg_hi:[1,0,0]
	v_pk_fma_f32 v[140:141], v[136:137], s[12:13], v[138:139]
	v_mov_b32_e32 v142, v119
	v_mov_b32_e32 v143, v117
	v_pk_mul_f32 v[144:145], v[70:71], s[36:37]
	v_pk_add_f32 v[68:69], v[152:153], v[68:69]
	v_mov_b32_e32 v70, v120
	v_mov_b32_e32 v71, v122
	;; [unrolled: 1-line block ×3, first 2 shown]
	v_pk_fma_f32 v[132:133], v[136:137], s[12:13], v[138:139] neg_lo:[0,0,1] neg_hi:[0,0,1]
	v_mov_b32_e32 v156, v66
	v_mov_b32_e32 v157, v65
	;; [unrolled: 1-line block ×3, first 2 shown]
	v_pk_fma_f32 v[162:163], v[142:143], s[20:21], v[144:145] neg_lo:[1,0,0] neg_hi:[1,0,0]
	v_pk_fma_f32 v[146:147], v[142:143], s[20:21], v[144:145]
	v_mov_b32_e32 v148, v123
	v_mov_b32_e32 v149, v121
	v_pk_mul_f32 v[150:151], v[70:71], s[40:41]
	v_pk_add_f32 v[68:69], v[154:155], v[68:69]
	v_mov_b32_e32 v70, v124
	v_mov_b32_e32 v71, v126
	v_pk_add_f32 v[130:131], v[44:45], v[134:135]
	v_mov_b32_e32 v141, v133
	v_pk_fma_f32 v[132:133], v[142:143], s[20:21], v[144:145] neg_lo:[0,0,1] neg_hi:[0,0,1]
	v_mov_b32_e32 v163, v147
	v_pk_fma_f32 v[164:165], v[148:149], s[10:11], v[150:151] neg_lo:[1,0,0] neg_hi:[1,0,0]
	v_pk_fma_f32 v[166:167], v[148:149], s[10:11], v[150:151]
	v_mov_b32_e32 v154, v127
	v_mov_b32_e32 v155, v125
	v_pk_mul_f32 v[168:169], v[70:71], s[42:43]
	v_pk_add_f32 v[156:157], v[156:157], v[68:69]
	v_mov_b32_e32 v68, v46
	v_mov_b32_e32 v69, v108
	v_pk_add_f32 v[130:131], v[140:141], v[130:131]
	v_mov_b32_e32 v147, v133
	v_pk_fma_f32 v[132:133], v[148:149], s[10:11], v[150:151] neg_lo:[0,0,1] neg_hi:[0,0,1]
	v_mov_b32_e32 v165, v167
	v_pk_fma_f32 v[170:171], v[154:155], s[14:15], v[168:169] neg_lo:[1,0,0] neg_hi:[1,0,0]
	v_pk_fma_f32 v[172:173], v[154:155], s[14:15], v[168:169]
	v_mov_b32_e32 v174, v109
	v_mov_b32_e32 v175, v47
	v_pk_mul_f32 v[176:177], v[68:69], s[44:45]
	v_pk_add_f32 v[130:131], v[146:147], v[130:131]
	v_mov_b32_e32 v167, v133
	v_pk_fma_f32 v[132:133], v[154:155], s[14:15], v[168:169] neg_lo:[0,0,1] neg_hi:[0,0,1]
	v_mov_b32_e32 v171, v173
	v_pk_fma_f32 v[152:153], v[174:175], s[18:19], v[176:177] neg_lo:[1,0,0] neg_hi:[1,0,0]
	v_pk_fma_f32 v[178:179], v[174:175], s[18:19], v[176:177]
	v_pk_add_f32 v[130:131], v[166:167], v[130:131]
	v_mov_b32_e32 v173, v133
	v_pk_fma_f32 v[132:133], v[174:175], s[18:19], v[176:177] neg_lo:[0,0,1] neg_hi:[0,0,1]
	v_mov_b32_e32 v153, v179
	v_pk_add_f32 v[130:131], v[172:173], v[130:131]
	v_mov_b32_e32 v179, v133
	v_pk_add_f32 v[130:131], v[178:179], v[130:131]
	s_barrier
	ds_write2_b64 v186, v[128:129], v[130:131] offset1:1
	v_pk_mul_f32 v[128:129], v[110:111], s[20:21] op_sel_hi:[1,0]
	v_pk_mul_f32 v[130:131], v[114:115], s[18:19] op_sel_hi:[1,0]
	v_pk_fma_f32 v[132:133], v[72:73], s[50:51], v[128:129] op_sel:[0,0,1] op_sel_hi:[1,0,0]
	v_pk_fma_f32 v[128:129], v[72:73], s[50:51], v[128:129] op_sel:[0,0,1] op_sel_hi:[1,0,0] neg_lo:[0,0,1] neg_hi:[0,0,1]
	v_mov_b32_e32 v148, v132
	v_mov_b32_e32 v149, v129
	v_pk_fma_f32 v[136:137], v[112:113], s[54:55], v[130:131] op_sel:[0,0,1] op_sel_hi:[1,0,0]
	v_pk_fma_f32 v[130:131], v[112:113], s[54:55], v[130:131] op_sel:[0,0,1] op_sel_hi:[1,0,0] neg_lo:[0,0,1] neg_hi:[0,0,1]
	v_pk_mul_f32 v[134:135], v[118:119], s[46:47] op_sel_hi:[1,0]
	v_mov_b32_e32 v150, v136
	v_mov_b32_e32 v151, v131
	v_pk_fma_f32 v[140:141], v[116:117], s[48:49], v[134:135] op_sel:[0,0,1] op_sel_hi:[1,0,0]
	v_pk_fma_f32 v[134:135], v[116:117], s[48:49], v[134:135] op_sel:[0,0,1] op_sel_hi:[1,0,0] neg_lo:[0,0,1] neg_hi:[0,0,1]
	v_pk_mul_f32 v[138:139], v[122:123], s[22:23] op_sel_hi:[1,0]
	v_pk_add_f32 v[148:149], v[44:45], v[148:149]
	v_mov_b32_e32 v154, v140
	v_mov_b32_e32 v155, v135
	v_pk_fma_f32 v[144:145], v[120:121], s[30:31], v[138:139] op_sel:[0,0,1] op_sel_hi:[1,0,0]
	v_pk_fma_f32 v[138:139], v[120:121], s[30:31], v[138:139] op_sel:[0,0,1] op_sel_hi:[1,0,0] neg_lo:[0,0,1] neg_hi:[0,0,1]
	v_pk_mul_f32 v[142:143], v[126:127], s[12:13] op_sel_hi:[1,0]
	v_pk_add_f32 v[148:149], v[150:151], v[148:149]
	v_mov_b32_e32 v166, v144
	v_mov_b32_e32 v167, v139
	v_pk_fma_f32 v[146:147], v[124:125], s[8:9], v[142:143] op_sel:[0,0,1] op_sel_hi:[1,0,0]
	v_pk_fma_f32 v[142:143], v[124:125], s[8:9], v[142:143] op_sel:[0,0,1] op_sel_hi:[1,0,0] neg_lo:[0,0,1] neg_hi:[0,0,1]
	v_pk_add_f32 v[148:149], v[154:155], v[148:149]
	v_pk_mul_f32 v[70:71], v[108:109], s[22:23] op_sel_hi:[1,0]
	v_mov_b32_e32 v168, v146
	v_mov_b32_e32 v169, v143
	v_pk_add_f32 v[148:149], v[166:167], v[148:149]
	v_pk_mul_f32 v[150:151], v[108:109], s[14:15] op_sel_hi:[1,0]
	v_pk_fma_f32 v[68:69], v[46:47], s[30:31], v[70:71] op_sel:[0,0,1] op_sel_hi:[1,0,0]
	v_pk_fma_f32 v[70:71], v[46:47], s[30:31], v[70:71] op_sel:[0,0,1] op_sel_hi:[1,0,0] neg_lo:[0,0,1] neg_hi:[0,0,1]
	v_pk_add_f32 v[154:155], v[168:169], v[148:149]
	v_pk_fma_f32 v[148:149], v[46:47], s[52:53], v[150:151] op_sel:[0,0,1] op_sel_hi:[1,0,0]
	v_pk_fma_f32 v[150:151], v[46:47], s[52:53], v[150:151] op_sel:[0,0,1] op_sel_hi:[1,0,0] neg_lo:[0,0,1] neg_hi:[0,0,1]
	v_mov_b32_e32 v180, v68
	v_mov_b32_e32 v181, v71
	;; [unrolled: 1-line block ×4, first 2 shown]
	v_pk_add_f32 v[156:157], v[180:181], v[156:157]
	v_pk_add_f32 v[154:155], v[166:167], v[154:155]
	ds_write2_b64 v186, v[156:157], v[154:155] offset0:2 offset1:3
	v_pk_mul_f32 v[154:155], v[110:111], s[10:11] op_sel_hi:[1,0]
	v_pk_mul_f32 v[168:169], v[114:115], s[26:27] op_sel_hi:[1,0]
	v_pk_fma_f32 v[156:157], v[72:73], s[48:49], v[154:155] op_sel:[0,0,1] op_sel_hi:[1,0,0]
	v_pk_fma_f32 v[154:155], v[72:73], s[48:49], v[154:155] op_sel:[0,0,1] op_sel_hi:[1,0,0] neg_lo:[0,0,1] neg_hi:[0,0,1]
	v_mov_b32_e32 v166, v156
	v_mov_b32_e32 v167, v155
	v_pk_fma_f32 v[172:173], v[112:113], s[52:53], v[168:169] op_sel:[0,0,1] op_sel_hi:[1,0,0]
	v_pk_fma_f32 v[168:169], v[112:113], s[52:53], v[168:169] op_sel:[0,0,1] op_sel_hi:[1,0,0] neg_lo:[0,0,1] neg_hi:[0,0,1]
	v_pk_mul_f32 v[176:177], v[118:119], s[22:23] op_sel_hi:[1,0]
	v_mov_b32_e32 v174, v172
	v_mov_b32_e32 v175, v169
	v_pk_fma_f32 v[178:179], v[116:117], s[30:31], v[176:177] op_sel:[0,0,1] op_sel_hi:[1,0,0]
	v_pk_fma_f32 v[176:177], v[116:117], s[30:31], v[176:177] op_sel:[0,0,1] op_sel_hi:[1,0,0] neg_lo:[0,0,1] neg_hi:[0,0,1]
	v_pk_mul_f32 v[182:183], v[122:123], s[20:21] op_sel_hi:[1,0]
	v_pk_add_f32 v[166:167], v[44:45], v[166:167]
	v_mov_b32_e32 v180, v178
	v_mov_b32_e32 v181, v177
	v_pk_fma_f32 v[184:185], v[120:121], s[50:51], v[182:183] op_sel:[0,0,1] op_sel_hi:[1,0,0]
	v_pk_fma_f32 v[182:183], v[120:121], s[50:51], v[182:183] op_sel:[0,0,1] op_sel_hi:[1,0,0] neg_lo:[0,0,1] neg_hi:[0,0,1]
	v_pk_mul_f32 v[196:197], v[126:127], s[38:39] op_sel_hi:[1,0]
	v_pk_add_f32 v[166:167], v[174:175], v[166:167]
	v_mov_b32_e32 v194, v184
	v_mov_b32_e32 v195, v183
	v_pk_fma_f32 v[198:199], v[124:125], s[54:55], v[196:197] op_sel:[0,0,1] op_sel_hi:[1,0,0]
	v_pk_fma_f32 v[196:197], v[124:125], s[54:55], v[196:197] op_sel:[0,0,1] op_sel_hi:[1,0,0] neg_lo:[0,0,1] neg_hi:[0,0,1]
	v_pk_add_f32 v[166:167], v[180:181], v[166:167]
	v_pk_mul_f32 v[174:175], v[108:109], s[28:29] op_sel_hi:[1,0]
	v_mov_b32_e32 v200, v198
	v_mov_b32_e32 v201, v197
	v_pk_add_f32 v[166:167], v[194:195], v[166:167]
	v_pk_fma_f32 v[180:181], v[46:47], s[8:9], v[174:175] op_sel:[0,0,1] op_sel_hi:[1,0,0]
	v_pk_fma_f32 v[174:175], v[46:47], s[8:9], v[174:175] op_sel:[0,0,1] op_sel_hi:[1,0,0] neg_lo:[0,0,1] neg_hi:[0,0,1]
	v_pk_add_f32 v[166:167], v[200:201], v[166:167]
	v_mov_b32_e32 v194, v180
	v_mov_b32_e32 v195, v175
	v_pk_add_f32 v[166:167], v[194:195], v[166:167]
	v_pk_mul_f32 v[194:195], v[110:111], s[14:15] op_sel_hi:[1,0]
	v_pk_mul_f32 v[204:205], v[114:115], s[16:17] op_sel_hi:[1,0]
	v_pk_fma_f32 v[200:201], v[72:73], s[52:53], v[194:195] op_sel:[0,0,1] op_sel_hi:[1,0,0]
	v_pk_fma_f32 v[194:195], v[72:73], s[52:53], v[194:195] op_sel:[0,0,1] op_sel_hi:[1,0,0] neg_lo:[0,0,1] neg_hi:[0,0,1]
	v_mov_b32_e32 v202, v200
	v_mov_b32_e32 v203, v195
	v_pk_fma_f32 v[206:207], v[112:113], s[50:51], v[204:205] op_sel:[0,0,1] op_sel_hi:[1,0,0]
	v_pk_fma_f32 v[204:205], v[112:113], s[50:51], v[204:205] op_sel:[0,0,1] op_sel_hi:[1,0,0] neg_lo:[0,0,1] neg_hi:[0,0,1]
	v_mov_b32_e32 v208, v206
	v_mov_b32_e32 v209, v205
	v_pk_add_f32 v[202:203], v[44:45], v[202:203]
	v_pk_add_f32 v[158:159], v[44:45], v[158:159]
	v_pk_add_f32 v[202:203], v[208:209], v[202:203]
	v_pk_mul_f32 v[208:209], v[118:119], s[12:13] op_sel_hi:[1,0]
	v_pk_mul_f32 v[110:111], v[110:111], s[18:19] op_sel_hi:[1,0]
	v_pk_fma_f32 v[210:211], v[116:117], s[8:9], v[208:209] op_sel:[0,0,1] op_sel_hi:[1,0,0]
	v_pk_fma_f32 v[208:209], v[116:117], s[8:9], v[208:209] op_sel:[0,0,1] op_sel_hi:[1,0,0] neg_lo:[0,0,1] neg_hi:[0,0,1]
	v_mov_b32_e32 v212, v210
	v_mov_b32_e32 v213, v209
	v_pk_add_f32 v[202:203], v[212:213], v[202:203]
	v_pk_mul_f32 v[212:213], v[122:123], s[38:39] op_sel_hi:[1,0]
	v_pk_add_f32 v[158:159], v[160:161], v[158:159]
	v_pk_fma_f32 v[160:161], v[72:73], s[54:55], v[110:111] op_sel:[0,0,1] op_sel_hi:[1,0,0]
	v_pk_fma_f32 v[72:73], v[72:73], s[54:55], v[110:111] op_sel:[0,0,1] op_sel_hi:[1,0,0] neg_lo:[0,0,1] neg_hi:[0,0,1]
	v_pk_mul_f32 v[110:111], v[114:115], s[22:23] op_sel_hi:[1,0]
	v_pk_fma_f32 v[214:215], v[120:121], s[54:55], v[212:213] op_sel:[0,0,1] op_sel_hi:[1,0,0]
	v_pk_fma_f32 v[212:213], v[120:121], s[54:55], v[212:213] op_sel:[0,0,1] op_sel_hi:[1,0,0] neg_lo:[0,0,1] neg_hi:[0,0,1]
	v_pk_fma_f32 v[114:115], v[112:113], s[30:31], v[110:111] op_sel:[0,0,1] op_sel_hi:[1,0,0]
	v_pk_fma_f32 v[110:111], v[112:113], s[30:31], v[110:111] op_sel:[0,0,1] op_sel_hi:[1,0,0] neg_lo:[0,0,1] neg_hi:[0,0,1]
	v_pk_mul_f32 v[112:113], v[118:119], s[14:15] op_sel_hi:[1,0]
	v_mov_b32_e32 v216, v214
	v_mov_b32_e32 v217, v213
	v_pk_fma_f32 v[118:119], v[116:117], s[52:53], v[112:113] op_sel:[0,0,1] op_sel_hi:[1,0,0]
	v_pk_fma_f32 v[112:113], v[116:117], s[52:53], v[112:113] op_sel:[0,0,1] op_sel_hi:[1,0,0] neg_lo:[0,0,1] neg_hi:[0,0,1]
	v_pk_mul_f32 v[116:117], v[122:123], s[28:29] op_sel_hi:[1,0]
	v_pk_add_f32 v[202:203], v[216:217], v[202:203]
	v_pk_mul_f32 v[216:217], v[126:127], s[22:23] op_sel_hi:[1,0]
	v_pk_fma_f32 v[122:123], v[120:121], s[8:9], v[116:117] op_sel:[0,0,1] op_sel_hi:[1,0,0]
	v_pk_fma_f32 v[116:117], v[120:121], s[8:9], v[116:117] op_sel:[0,0,1] op_sel_hi:[1,0,0] neg_lo:[0,0,1] neg_hi:[0,0,1]
	v_pk_mul_f32 v[120:121], v[126:127], s[10:11] op_sel_hi:[1,0]
	v_pk_fma_f32 v[218:219], v[124:125], s[30:31], v[216:217] op_sel:[0,0,1] op_sel_hi:[1,0,0]
	v_pk_fma_f32 v[216:217], v[124:125], s[30:31], v[216:217] op_sel:[0,0,1] op_sel_hi:[1,0,0] neg_lo:[0,0,1] neg_hi:[0,0,1]
	v_pk_fma_f32 v[126:127], v[124:125], s[48:49], v[120:121] op_sel:[0,0,1] op_sel_hi:[1,0,0]
	v_pk_fma_f32 v[120:121], v[124:125], s[48:49], v[120:121] op_sel:[0,0,1] op_sel_hi:[1,0,0] neg_lo:[0,0,1] neg_hi:[0,0,1]
	v_mov_b32_e32 v124, v160
	v_mov_b32_e32 v125, v73
	v_pk_add_f32 v[158:159], v[162:163], v[158:159]
	v_mov_b32_e32 v162, v114
	v_mov_b32_e32 v163, v111
	v_pk_add_f32 v[124:125], v[44:45], v[124:125]
	v_mov_b32_e32 v73, v161
	v_pk_add_f32 v[124:125], v[162:163], v[124:125]
	v_mov_b32_e32 v162, v118
	v_mov_b32_e32 v163, v113
	;; [unrolled: 1-line block ×3, first 2 shown]
	v_pk_add_f32 v[72:73], v[44:45], v[72:73]
	v_mov_b32_e32 v220, v218
	v_mov_b32_e32 v221, v217
	v_pk_add_f32 v[124:125], v[162:163], v[124:125]
	v_mov_b32_e32 v162, v122
	v_mov_b32_e32 v163, v117
	;; [unrolled: 1-line block ×3, first 2 shown]
	v_pk_add_f32 v[72:73], v[110:111], v[72:73]
	v_pk_add_f32 v[202:203], v[220:221], v[202:203]
	v_pk_mul_f32 v[220:221], v[108:109], s[10:11] op_sel_hi:[1,0]
	v_pk_add_f32 v[124:125], v[162:163], v[124:125]
	v_mov_b32_e32 v162, v126
	v_mov_b32_e32 v163, v121
	v_pk_mul_f32 v[108:109], v[108:109], s[16:17] op_sel_hi:[1,0]
	v_mov_b32_e32 v117, v123
	v_pk_add_f32 v[72:73], v[112:113], v[72:73]
	v_pk_add_f32 v[124:125], v[162:163], v[124:125]
	v_pk_fma_f32 v[162:163], v[46:47], s[50:51], v[108:109] op_sel:[0,0,1] op_sel_hi:[1,0,0]
	v_pk_fma_f32 v[108:109], v[46:47], s[50:51], v[108:109] op_sel:[0,0,1] op_sel_hi:[1,0,0] neg_lo:[0,0,1] neg_hi:[0,0,1]
	v_mov_b32_e32 v121, v127
	v_pk_add_f32 v[72:73], v[116:117], v[72:73]
	v_pk_fma_f32 v[222:223], v[46:47], s[48:49], v[220:221] op_sel:[0,0,1] op_sel_hi:[1,0,0]
	v_pk_fma_f32 v[220:221], v[46:47], s[48:49], v[220:221] op_sel:[0,0,1] op_sel_hi:[1,0,0] neg_lo:[0,0,1] neg_hi:[0,0,1]
	v_mov_b32_e32 v46, v162
	v_mov_b32_e32 v47, v109
	v_pk_add_f32 v[72:73], v[120:121], v[72:73]
	v_mov_b32_e32 v109, v163
	v_pk_add_f32 v[124:125], v[46:47], v[124:125]
	v_pk_add_f32 v[72:73], v[108:109], v[72:73]
	v_mov_b32_e32 v195, v201
	v_mov_b32_e32 v155, v157
	ds_write2_b64 v186, v[124:125], v[72:73] offset0:6 offset1:7
	v_mov_b32_e32 v205, v207
	v_pk_add_f32 v[72:73], v[44:45], v[194:195]
	v_mov_b32_e32 v169, v173
	v_pk_add_f32 v[108:109], v[44:45], v[154:155]
	;; [unrolled: 2-line block ×11, first 2 shown]
	v_pk_add_f32 v[108:109], v[174:175], v[108:109]
	v_mov_b32_e32 v129, v133
	v_mov_b32_e32 v49, v51
	ds_write2_b64 v186, v[72:73], v[108:109] offset0:8 offset1:9
	v_mov_b32_e32 v131, v137
	v_pk_add_f32 v[72:73], v[44:45], v[128:129]
	v_mov_b32_e32 v53, v55
	v_pk_add_f32 v[44:45], v[44:45], v[48:49]
	;; [unrolled: 2-line block ×9, first 2 shown]
	v_pk_add_f32 v[72:73], v[142:143], v[72:73]
	v_mov_b32_e32 v151, v149
	v_pk_add_f32 v[44:45], v[64:65], v[44:45]
	v_mov_b32_e32 v71, v69
	v_pk_add_f32 v[202:203], v[224:225], v[202:203]
	v_pk_add_f32 v[158:159], v[170:171], v[158:159]
	;; [unrolled: 1-line block ×4, first 2 shown]
	ds_write2_b64 v186, v[166:167], v[202:203] offset0:4 offset1:5
	v_pk_add_f32 v[46:47], v[152:153], v[158:159]
	ds_write2_b64 v186, v[72:73], v[44:45] offset0:10 offset1:11
	ds_write_b64 v186, v[46:47] offset:96
	s_waitcnt lgkmcnt(0)
	s_barrier
	ds_read2_b64 v[62:65], v89 offset1:39
	ds_read2_b64 v[70:73], v89 offset0:169 offset1:208
	ds_read2_b64 v[66:69], v193 offset0:82 offset1:121
	ds_read2_b64 v[50:53], v89 offset0:78 offset1:117
	ds_read2_b64 v[58:61], v192 offset0:119 offset1:158
	ds_read2_b64 v[54:57], v193 offset0:160 offset1:199
	s_and_saveexec_b64 s[8:9], s[0:1]
	s_xor_b64 s[0:1], exec, s[8:9]
	s_or_saveexec_b64 s[0:1], s[0:1]
	v_mov_b32_e32 v136, v8
	v_mov_b32_e32 v137, v8
	;; [unrolled: 1-line block ×24, first 2 shown]
	s_xor_b64 exec, exec, s[0:1]
	s_cbranch_execz .LBB0_7
; %bb.6:
	v_add_u32_e32 v44, 0x400, v89
	ds_read_b64 v[104:105], v89 offset:3952
	ds_read2_b64 v[46:49], v44 offset0:28 offset1:197
	s_waitcnt lgkmcnt(1)
	v_mov_b32_e32 v107, v105
	s_waitcnt lgkmcnt(0)
	v_mov_b32_e32 v106, v48
	v_mov_b32_e32 v105, v49
.LBB0_7:
	s_or_b64 exec, exec, s[0:1]
	s_waitcnt lgkmcnt(4)
	v_pk_mul_f32 v[8:9], v[8:9], v[70:71]
	s_waitcnt lgkmcnt(3)
	v_pk_mul_f32 v[10:11], v[10:11], v[66:67]
	v_pk_fma_f32 v[138:139], v[136:137], v[70:71], v[8:9] op_sel:[0,0,1] op_sel_hi:[1,1,0]
	v_pk_fma_f32 v[8:9], v[136:137], v[70:71], v[8:9] op_sel:[0,0,1] op_sel_hi:[1,1,0] neg_lo:[0,0,1] neg_hi:[0,0,1]
	s_mov_b32 s0, 0x3f5db3d7
	v_mov_b32_e32 v139, v9
	v_pk_fma_f32 v[8:9], v[134:135], v[66:67], v[10:11] op_sel:[0,0,1] op_sel_hi:[1,1,0]
	v_pk_fma_f32 v[10:11], v[134:135], v[66:67], v[10:11] op_sel:[0,0,1] op_sel_hi:[1,1,0] neg_lo:[0,0,1] neg_hi:[0,0,1]
	v_pk_mul_f32 v[4:5], v[4:5], v[72:73]
	v_mov_b32_e32 v9, v11
	v_pk_add_f32 v[10:11], v[62:63], v[138:139]
	v_pk_add_f32 v[66:67], v[138:139], v[8:9]
	;; [unrolled: 1-line block ×3, first 2 shown]
	v_pk_add_f32 v[8:9], v[138:139], v[8:9] neg_lo:[0,1] neg_hi:[0,1]
	v_pk_fma_f32 v[62:63], v[66:67], 0.5, v[62:63] op_sel_hi:[1,0,1] neg_lo:[1,0,0] neg_hi:[1,0,0]
	v_pk_mul_f32 v[8:9], v[8:9], s[0:1] op_sel_hi:[1,0]
	v_pk_mul_f32 v[6:7], v[6:7], v[68:69]
	v_pk_add_f32 v[66:67], v[62:63], v[8:9] op_sel:[0,1] op_sel_hi:[1,0] neg_lo:[0,1] neg_hi:[0,1]
	v_pk_add_f32 v[8:9], v[62:63], v[8:9] op_sel:[0,1] op_sel_hi:[1,0]
	s_waitcnt lgkmcnt(0)
	v_mov_b32_e32 v63, v9
	v_mov_b32_e32 v9, v67
	s_barrier
	ds_write_b64 v189, v[8:9] offset:208
	v_pk_fma_f32 v[8:9], v[132:133], v[72:73], v[4:5] op_sel:[0,0,1] op_sel_hi:[1,1,0]
	v_pk_fma_f32 v[4:5], v[132:133], v[72:73], v[4:5] op_sel:[0,0,1] op_sel_hi:[1,1,0] neg_lo:[0,0,1] neg_hi:[0,0,1]
	v_mov_b32_e32 v62, v66
	v_mov_b32_e32 v9, v5
	v_pk_fma_f32 v[4:5], v[130:131], v[68:69], v[6:7] op_sel:[0,0,1] op_sel_hi:[1,1,0]
	v_pk_fma_f32 v[6:7], v[130:131], v[68:69], v[6:7] op_sel:[0,0,1] op_sel_hi:[1,1,0] neg_lo:[0,0,1] neg_hi:[0,0,1]
	ds_write2_b64 v189, v[10:11], v[62:63] offset1:13
	v_mov_b32_e32 v5, v7
	v_pk_add_f32 v[6:7], v[64:65], v[8:9]
	v_pk_add_f32 v[10:11], v[8:9], v[4:5]
	;; [unrolled: 1-line block ×3, first 2 shown]
	v_pk_add_f32 v[4:5], v[8:9], v[4:5] neg_lo:[0,1] neg_hi:[0,1]
	v_pk_fma_f32 v[10:11], v[10:11], 0.5, v[64:65] op_sel_hi:[1,0,1] neg_lo:[1,0,0] neg_hi:[1,0,0]
	v_pk_mul_f32 v[4:5], v[4:5], s[0:1] op_sel_hi:[1,0]
	v_pk_mul_f32 v[12:13], v[12:13], v[58:59]
	v_pk_add_f32 v[8:9], v[10:11], v[4:5] op_sel:[0,1] op_sel_hi:[1,0] neg_lo:[0,1] neg_hi:[0,1]
	v_pk_add_f32 v[4:5], v[10:11], v[4:5] op_sel:[0,1] op_sel_hi:[1,0]
	v_mov_b32_e32 v10, v8
	v_mov_b32_e32 v11, v5
	;; [unrolled: 1-line block ×3, first 2 shown]
	v_pk_mul_f32 v[14:15], v[14:15], v[54:55]
	ds_write2_b64 v188, v[6:7], v[10:11] offset1:13
	ds_write_b64 v188, v[4:5] offset:208
	v_pk_fma_f32 v[4:5], v[128:129], v[58:59], v[12:13] op_sel:[0,0,1] op_sel_hi:[1,1,0]
	v_pk_fma_f32 v[6:7], v[128:129], v[58:59], v[12:13] op_sel:[0,0,1] op_sel_hi:[1,1,0] neg_lo:[0,0,1] neg_hi:[0,0,1]
	v_pk_fma_f32 v[8:9], v[126:127], v[54:55], v[14:15] op_sel:[0,0,1] op_sel_hi:[1,1,0] neg_lo:[0,0,1] neg_hi:[0,0,1]
	v_mov_b32_e32 v5, v7
	v_pk_fma_f32 v[6:7], v[126:127], v[54:55], v[14:15] op_sel:[0,0,1] op_sel_hi:[1,1,0]
	v_pk_mul_f32 v[24:25], v[24:25], v[60:61]
	v_mov_b32_e32 v7, v9
	v_pk_add_f32 v[8:9], v[50:51], v[4:5]
	v_pk_add_f32 v[10:11], v[4:5], v[6:7]
	v_pk_add_f32 v[4:5], v[4:5], v[6:7] neg_lo:[0,1] neg_hi:[0,1]
	v_pk_fma_f32 v[10:11], v[10:11], 0.5, v[50:51] op_sel_hi:[1,0,1] neg_lo:[1,0,0] neg_hi:[1,0,0]
	v_pk_mul_f32 v[4:5], v[4:5], s[0:1] op_sel_hi:[1,0]
	v_pk_add_f32 v[8:9], v[8:9], v[6:7]
	v_pk_add_f32 v[6:7], v[10:11], v[4:5] op_sel:[0,1] op_sel_hi:[1,0] neg_lo:[0,1] neg_hi:[0,1]
	v_pk_add_f32 v[4:5], v[10:11], v[4:5] op_sel:[0,1] op_sel_hi:[1,0]
	v_pk_mul_f32 v[26:27], v[26:27], v[56:57]
	v_mov_b32_e32 v11, v5
	v_mov_b32_e32 v5, v7
	;; [unrolled: 1-line block ×3, first 2 shown]
	ds_write_b64 v190, v[4:5] offset:208
	v_pk_fma_f32 v[4:5], v[124:125], v[60:61], v[24:25] op_sel:[0,0,1] op_sel_hi:[1,1,0]
	v_pk_fma_f32 v[6:7], v[124:125], v[60:61], v[24:25] op_sel:[0,0,1] op_sel_hi:[1,1,0] neg_lo:[0,0,1] neg_hi:[0,0,1]
	ds_write2_b64 v190, v[8:9], v[10:11] offset1:13
	v_mov_b32_e32 v5, v7
	v_pk_fma_f32 v[6:7], v[122:123], v[56:57], v[26:27] op_sel:[0,0,1] op_sel_hi:[1,1,0]
	v_pk_fma_f32 v[8:9], v[122:123], v[56:57], v[26:27] op_sel:[0,0,1] op_sel_hi:[1,1,0] neg_lo:[0,0,1] neg_hi:[0,0,1]
	v_mov_b32_e32 v120, v18
	v_mov_b32_e32 v7, v9
	v_pk_add_f32 v[8:9], v[52:53], v[4:5]
	v_pk_add_f32 v[10:11], v[4:5], v[6:7]
	v_pk_add_f32 v[4:5], v[4:5], v[6:7] neg_lo:[0,1] neg_hi:[0,1]
	v_pk_fma_f32 v[10:11], v[10:11], 0.5, v[52:53] op_sel_hi:[1,0,1] neg_lo:[1,0,0] neg_hi:[1,0,0]
	v_pk_mul_f32 v[4:5], v[4:5], s[0:1] op_sel_hi:[1,0]
	v_pk_add_f32 v[8:9], v[8:9], v[6:7]
	v_pk_add_f32 v[6:7], v[10:11], v[4:5] op_sel:[0,1] op_sel_hi:[1,0] neg_lo:[0,1] neg_hi:[0,1]
	v_pk_add_f32 v[4:5], v[10:11], v[4:5] op_sel:[0,1] op_sel_hi:[1,0]
	v_mov_b32_e32 v121, v18
	v_mov_b32_e32 v18, v19
	;; [unrolled: 1-line block ×29, first 2 shown]
	ds_write2_b64 v191, v[8:9], v[10:11] offset1:13
	ds_write_b64 v191, v[4:5] offset:208
	s_and_saveexec_b64 s[8:9], vcc
	s_cbranch_execz .LBB0_9
; %bb.8:
	v_pk_mul_f32 v[4:5], v[0:1], v[104:105] op_sel:[0,1]
	v_and_b32_e32 v8, 0xff, v187
	v_pk_mul_f32 v[6:7], v[2:3], v[106:107] op_sel:[0,1]
	v_lshl_add_u32 v10, v8, 3, v93
	v_pk_fma_f32 v[8:9], v[0:1], v[106:107], v[4:5] op_sel:[0,0,1] op_sel_hi:[1,1,0]
	v_pk_fma_f32 v[0:1], v[0:1], v[106:107], v[4:5] op_sel:[0,0,1] op_sel_hi:[1,0,0] neg_lo:[1,0,0] neg_hi:[1,0,0]
	s_nop 0
	v_mov_b32_e32 v9, v1
	v_pk_fma_f32 v[0:1], v[2:3], v[104:105], v[6:7] op_sel:[0,0,1] op_sel_hi:[1,1,0]
	v_pk_fma_f32 v[2:3], v[2:3], v[104:105], v[6:7] op_sel:[0,0,1] op_sel_hi:[1,0,0] neg_lo:[1,0,0] neg_hi:[1,0,0]
	s_nop 0
	v_mov_b32_e32 v1, v3
	v_pk_add_f32 v[2:3], v[46:47], v[8:9]
	v_pk_add_f32 v[4:5], v[8:9], v[0:1]
	;; [unrolled: 1-line block ×3, first 2 shown]
	v_pk_add_f32 v[0:1], v[8:9], v[0:1] neg_lo:[0,1] neg_hi:[0,1]
	v_pk_fma_f32 v[4:5], -0.5, v[4:5], v[46:47] op_sel_hi:[0,1,1]
	v_pk_mul_f32 v[0:1], v[0:1], s[0:1] op_sel_hi:[1,0]
	s_nop 0
	v_pk_add_f32 v[6:7], v[4:5], v[0:1] op_sel:[0,1] op_sel_hi:[1,0] neg_lo:[0,1] neg_hi:[0,1]
	v_pk_add_f32 v[0:1], v[4:5], v[0:1] op_sel:[0,1] op_sel_hi:[1,0]
	v_mov_b32_e32 v4, v6
	v_mov_b32_e32 v5, v1
	v_add_u32_e32 v1, 0x800, v10
	ds_write2_b64 v1, v[2:3], v[4:5] offset0:212 offset1:225
	v_mov_b32_e32 v1, v7
	ds_write_b64 v10, v[0:1] offset:3952
.LBB0_9:
	s_or_b64 exec, exec, s[8:9]
	s_waitcnt lgkmcnt(0)
	s_barrier
	ds_read2_b64 v[0:3], v89 offset1:39
	ds_read2_b64 v[8:11], v89 offset0:156 offset1:195
	v_add_u32_e32 v47, 0x400, v89
	ds_read2_b64 v[12:15], v47 offset0:106 offset1:145
	v_add_u32_e32 v46, 0x800, v89
	ds_read2_b64 v[24:27], v46 offset0:56 offset1:95
	ds_read2_b64 v[50:53], v46 offset0:134 offset1:173
	ds_read_b64 v[54:55], v89 offset:3744
	s_waitcnt lgkmcnt(4)
	v_pk_mul_f32 v[18:19], v[18:19], v[8:9]
	v_mov_b32_e32 v4, s2
	v_pk_fma_f32 v[56:57], v[120:121], v[8:9], v[18:19] op_sel:[0,0,1] op_sel_hi:[1,1,0]
	v_pk_fma_f32 v[8:9], v[120:121], v[8:9], v[18:19] op_sel:[0,0,1] op_sel_hi:[1,1,0] neg_lo:[0,0,1] neg_hi:[0,0,1]
	v_mad_u64_u32 v[6:7], s[0:1], s6, v88, 0
	v_mov_b32_e32 v57, v9
	v_pk_mul_f32 v[8:9], v[32:33], v[10:11]
	s_mov_b32 s2, 0xbeedf032
	v_pk_fma_f32 v[32:33], v[118:119], v[10:11], v[8:9] op_sel:[0,0,1] op_sel_hi:[1,1,0]
	v_pk_fma_f32 v[8:9], v[118:119], v[10:11], v[8:9] op_sel:[0,0,1] op_sel_hi:[1,1,0] neg_lo:[0,0,1] neg_hi:[0,0,1]
	s_mov_b32 s0, 0x3f62ad3f
	v_mov_b32_e32 v33, v9
	s_waitcnt lgkmcnt(3)
	v_pk_mul_f32 v[8:9], v[34:35], v[12:13]
	s_mov_b32 s16, 0xbf52af12
	v_pk_fma_f32 v[34:35], v[116:117], v[12:13], v[8:9] op_sel:[0,0,1] op_sel_hi:[1,1,0]
	v_pk_fma_f32 v[8:9], v[116:117], v[12:13], v[8:9] op_sel:[0,0,1] op_sel_hi:[1,1,0] neg_lo:[0,0,1] neg_hi:[0,0,1]
	s_mov_b32 s24, 0xbf7e222b
	v_mov_b32_e32 v35, v9
	v_pk_mul_f32 v[8:9], v[28:29], v[14:15]
	s_mov_b32 s6, 0x3df6dbef
	v_pk_fma_f32 v[28:29], v[114:115], v[14:15], v[8:9] op_sel:[0,0,1] op_sel_hi:[1,1,0]
	v_pk_fma_f32 v[8:9], v[114:115], v[14:15], v[8:9] op_sel:[0,0,1] op_sel_hi:[1,1,0] neg_lo:[0,0,1] neg_hi:[0,0,1]
	s_mov_b32 s10, 0xbf6f5d39
	v_mov_b32_e32 v29, v9
	s_waitcnt lgkmcnt(2)
	v_pk_mul_f32 v[8:9], v[30:31], v[24:25]
	s_mov_b32 s8, 0xbeb58ec6
	v_pk_fma_f32 v[30:31], v[112:113], v[24:25], v[8:9] op_sel:[0,0,1] op_sel_hi:[1,1,0]
	v_pk_fma_f32 v[8:9], v[112:113], v[24:25], v[8:9] op_sel:[0,0,1] op_sel_hi:[1,1,0] neg_lo:[0,0,1] neg_hi:[0,0,1]
	s_mov_b32 s14, 0xbf29c268
	v_mov_b32_e32 v31, v9
	v_pk_mul_f32 v[8:9], v[40:41], v[26:27]
	v_pk_add_f32 v[66:67], v[32:33], v[30:31] neg_lo:[0,1] neg_hi:[0,1]
	v_pk_fma_f32 v[18:19], v[110:111], v[26:27], v[8:9] op_sel:[0,0,1] op_sel_hi:[1,1,0]
	v_pk_fma_f32 v[8:9], v[110:111], v[26:27], v[8:9] op_sel:[0,0,1] op_sel_hi:[1,1,0] neg_lo:[0,0,1] neg_hi:[0,0,1]
	v_pk_mul_f32 v[26:27], v[20:21], v[2:3] op_sel:[1,0]
	v_mov_b32_e32 v19, v9
	s_waitcnt lgkmcnt(1)
	v_pk_mul_f32 v[8:9], v[42:43], v[50:51]
	v_pk_add_f32 v[62:63], v[56:57], v[18:19]
	v_pk_fma_f32 v[14:15], v[108:109], v[50:51], v[8:9] op_sel:[0,0,1] op_sel_hi:[1,1,0]
	v_pk_fma_f32 v[8:9], v[108:109], v[50:51], v[8:9] op_sel:[0,0,1] op_sel_hi:[1,1,0] neg_lo:[0,0,1] neg_hi:[0,0,1]
	v_pk_add_f32 v[64:65], v[32:33], v[30:31]
	v_mov_b32_e32 v15, v9
	v_pk_mul_f32 v[8:9], v[36:37], v[52:53]
	v_pk_fma_f32 v[36:37], v[20:21], v[2:3], v[26:27] op_sel:[0,0,1] op_sel_hi:[1,1,0]
	v_pk_fma_f32 v[12:13], v[48:49], v[52:53], v[8:9] op_sel:[0,0,1] op_sel_hi:[1,1,0]
	v_pk_fma_f32 v[8:9], v[48:49], v[52:53], v[8:9] op_sel:[0,0,1] op_sel_hi:[1,1,0] neg_lo:[0,0,1] neg_hi:[0,0,1]
	v_pk_fma_f32 v[2:3], v[20:21], v[2:3], v[26:27] op_sel:[0,0,1] op_sel_hi:[0,1,0] neg_lo:[0,0,1] neg_hi:[0,0,1]
	v_mov_b32_e32 v13, v9
	s_waitcnt lgkmcnt(0)
	v_pk_mul_f32 v[8:9], v[38:39], v[54:55]
	v_mov_b32_e32 v37, v3
	v_pk_fma_f32 v[24:25], v[44:45], v[54:55], v[8:9] op_sel:[0,0,1] op_sel_hi:[1,1,0]
	v_pk_fma_f32 v[8:9], v[44:45], v[54:55], v[8:9] op_sel:[0,0,1] op_sel_hi:[1,1,0] neg_lo:[0,0,1] neg_hi:[0,0,1]
	s_mov_b32 s12, 0xbf3f9e67
	v_mov_b32_e32 v25, v9
	ds_read2_b64 v[8:11], v89 offset0:78 offset1:117
	v_pk_add_f32 v[50:51], v[36:37], v[24:25] neg_lo:[0,1] neg_hi:[0,1]
	v_pk_add_f32 v[48:49], v[36:37], v[24:25]
	v_pk_add_f32 v[70:71], v[34:35], v[28:29] neg_lo:[0,1] neg_hi:[0,1]
	s_mov_b32 s20, 0xbe750f2a
	s_waitcnt lgkmcnt(0)
	v_pk_mul_f32 v[2:3], v[22:23], v[8:9] op_sel:[1,0]
	v_pk_add_f32 v[68:69], v[34:35], v[28:29]
	v_pk_fma_f32 v[20:21], v[22:23], v[8:9], v[2:3] op_sel:[0,0,1] op_sel_hi:[1,1,0]
	v_pk_fma_f32 v[2:3], v[22:23], v[8:9], v[2:3] op_sel:[0,0,1] op_sel_hi:[0,1,0] neg_lo:[0,0,1] neg_hi:[0,0,1]
	v_mov_b32_e32 v21, v3
	v_pk_mul_f32 v[2:3], v[16:17], v[10:11] op_sel:[1,0]
	v_pk_mul_f32 v[8:9], v[50:51], s[2:3] op_sel_hi:[1,0]
	v_pk_fma_f32 v[22:23], v[16:17], v[10:11], v[2:3] op_sel:[0,0,1] op_sel_hi:[1,1,0]
	v_pk_fma_f32 v[2:3], v[16:17], v[10:11], v[2:3] op_sel:[0,0,1] op_sel_hi:[0,1,0] neg_lo:[0,0,1] neg_hi:[0,0,1]
	v_mov_b32_e32 v23, v3
	v_pk_add_f32 v[2:3], v[0:1], v[36:37]
	v_pk_add_f32 v[54:55], v[20:21], v[12:13] neg_lo:[0,1] neg_hi:[0,1]
	v_pk_add_f32 v[2:3], v[2:3], v[20:21]
	v_pk_add_f32 v[52:53], v[20:21], v[12:13]
	;; [unrolled: 1-line block ×3, first 2 shown]
	s_mov_b32 s2, 0x3f116cb1
	v_pk_add_f32 v[2:3], v[2:3], v[56:57]
	v_pk_add_f32 v[60:61], v[22:23], v[14:15] neg_lo:[0,1] neg_hi:[0,1]
	v_pk_add_f32 v[2:3], v[2:3], v[32:33]
	v_pk_add_f32 v[58:59], v[22:23], v[14:15]
	;; [unrolled: 1-line block ×3, first 2 shown]
	v_pk_add_f32 v[56:57], v[56:57], v[18:19] neg_lo:[0,1] neg_hi:[0,1]
	v_pk_add_f32 v[2:3], v[2:3], v[28:29]
	s_mov_b32 s18, 0xbf788fa5
	v_pk_add_f32 v[2:3], v[2:3], v[30:31]
	v_pk_mul_f32 v[28:29], v[70:71], s[20:21] op_sel_hi:[1,0]
	v_pk_add_f32 v[2:3], v[2:3], v[18:19]
	v_pk_mul_f32 v[36:37], v[54:55], s[10:11] op_sel_hi:[1,0]
	v_pk_add_f32 v[2:3], v[2:3], v[14:15]
	s_mov_b32 s28, 0x3f29c268
	v_pk_add_f32 v[2:3], v[2:3], v[12:13]
	v_pk_mul_f32 v[12:13], v[54:55], s[16:17] op_sel_hi:[1,0]
	v_pk_add_f32 v[38:39], v[2:3], v[24:25]
	v_pk_fma_f32 v[2:3], v[48:49], s[0:1], v[8:9] op_sel:[0,0,1] op_sel_hi:[1,0,0]
	v_pk_fma_f32 v[8:9], v[48:49], s[0:1], v[8:9] op_sel:[0,0,1] op_sel_hi:[1,0,0] neg_lo:[0,0,1] neg_hi:[0,0,1]
	v_mov_b32_e32 v10, v2
	v_mov_b32_e32 v11, v9
	v_pk_add_f32 v[16:17], v[0:1], v[10:11]
	v_pk_fma_f32 v[10:11], v[52:53], s[2:3], v[12:13] op_sel:[0,0,1] op_sel_hi:[1,0,0]
	v_pk_fma_f32 v[12:13], v[52:53], s[2:3], v[12:13] op_sel:[0,0,1] op_sel_hi:[1,0,0] neg_lo:[0,0,1] neg_hi:[0,0,1]
	v_mov_b32_e32 v20, v10
	v_mov_b32_e32 v21, v13
	v_pk_add_f32 v[20:21], v[20:21], v[16:17]
	v_pk_mul_f32 v[16:17], v[60:61], s[24:25] op_sel_hi:[1,0]
	s_mov_b32 s22, 0x3f7e222b
	v_pk_fma_f32 v[14:15], v[58:59], s[6:7], v[16:17] op_sel:[0,0,1] op_sel_hi:[1,0,0]
	v_pk_fma_f32 v[16:17], v[58:59], s[6:7], v[16:17] op_sel:[0,0,1] op_sel_hi:[1,0,0] neg_lo:[0,0,1] neg_hi:[0,0,1]
	v_mov_b32_e32 v22, v14
	v_mov_b32_e32 v23, v17
	v_pk_add_f32 v[22:23], v[22:23], v[20:21]
	v_pk_mul_f32 v[20:21], v[56:57], s[10:11] op_sel_hi:[1,0]
	s_mov_b32 s26, 0x3eedf032
	v_pk_fma_f32 v[18:19], v[62:63], s[8:9], v[20:21] op_sel:[0,0,1] op_sel_hi:[1,0,0]
	v_pk_fma_f32 v[20:21], v[62:63], s[8:9], v[20:21] op_sel:[0,0,1] op_sel_hi:[1,0,0] neg_lo:[0,0,1] neg_hi:[0,0,1]
	v_mov_b32_e32 v24, v18
	v_mov_b32_e32 v25, v21
	v_pk_add_f32 v[26:27], v[24:25], v[22:23]
	v_pk_mul_f32 v[24:25], v[66:67], s[14:15] op_sel_hi:[1,0]
	v_pk_mul_f32 v[118:119], v[54:55], s[20:21] op_sel_hi:[1,0]
	v_pk_fma_f32 v[22:23], v[64:65], s[12:13], v[24:25] op_sel:[0,0,1] op_sel_hi:[1,0,0]
	v_pk_fma_f32 v[24:25], v[64:65], s[12:13], v[24:25] op_sel:[0,0,1] op_sel_hi:[1,0,0] neg_lo:[0,0,1] neg_hi:[0,0,1]
	v_mov_b32_e32 v30, v22
	v_mov_b32_e32 v31, v25
	v_pk_add_f32 v[30:31], v[30:31], v[26:27]
	v_pk_fma_f32 v[26:27], v[68:69], s[18:19], v[28:29] op_sel:[0,0,1] op_sel_hi:[1,0,0]
	v_pk_fma_f32 v[28:29], v[68:69], s[18:19], v[28:29] op_sel:[0,0,1] op_sel_hi:[1,0,0] neg_lo:[0,0,1] neg_hi:[0,0,1]
	v_mov_b32_e32 v32, v26
	v_mov_b32_e32 v33, v29
	v_pk_add_f32 v[30:31], v[32:33], v[30:31]
	v_pk_mul_f32 v[32:33], v[50:51], s[16:17] op_sel_hi:[1,0]
	ds_write2_b64 v89, v[38:39], v[30:31] offset1:39
	v_pk_fma_f32 v[30:31], v[48:49], s[2:3], v[32:33] op_sel:[0,0,1] op_sel_hi:[1,0,0]
	v_pk_fma_f32 v[32:33], v[48:49], s[2:3], v[32:33] op_sel:[0,0,1] op_sel_hi:[1,0,0] neg_lo:[0,0,1] neg_hi:[0,0,1]
	v_mov_b32_e32 v34, v30
	v_mov_b32_e32 v35, v33
	v_pk_add_f32 v[38:39], v[0:1], v[34:35]
	v_pk_fma_f32 v[34:35], v[52:53], s[8:9], v[36:37] op_sel:[0,0,1] op_sel_hi:[1,0,0]
	v_pk_fma_f32 v[36:37], v[52:53], s[8:9], v[36:37] op_sel:[0,0,1] op_sel_hi:[1,0,0] neg_lo:[0,0,1] neg_hi:[0,0,1]
	v_mov_b32_e32 v40, v34
	v_mov_b32_e32 v41, v37
	v_pk_add_f32 v[42:43], v[40:41], v[38:39]
	v_pk_mul_f32 v[40:41], v[60:61], s[20:21] op_sel_hi:[1,0]
	v_pk_fma_f32 v[120:121], v[52:53], s[18:19], v[118:119] op_sel:[0,0,1] op_sel_hi:[1,0,0]
	v_pk_fma_f32 v[38:39], v[58:59], s[18:19], v[40:41] op_sel:[0,0,1] op_sel_hi:[1,0,0]
	v_pk_fma_f32 v[40:41], v[58:59], s[18:19], v[40:41] op_sel:[0,0,1] op_sel_hi:[1,0,0] neg_lo:[0,0,1] neg_hi:[0,0,1]
	v_mov_b32_e32 v44, v38
	v_mov_b32_e32 v45, v41
	v_pk_add_f32 v[72:73], v[44:45], v[42:43]
	v_pk_mul_f32 v[44:45], v[56:57], s[28:29] op_sel_hi:[1,0]
	v_pk_fma_f32 v[118:119], v[52:53], s[18:19], v[118:119] op_sel:[0,0,1] op_sel_hi:[1,0,0] neg_lo:[0,0,1] neg_hi:[0,0,1]
	v_pk_fma_f32 v[42:43], v[62:63], s[12:13], v[44:45] op_sel:[0,0,1] op_sel_hi:[1,0,0]
	v_pk_fma_f32 v[44:45], v[62:63], s[12:13], v[44:45] op_sel:[0,0,1] op_sel_hi:[1,0,0] neg_lo:[0,0,1] neg_hi:[0,0,1]
	v_mov_b32_e32 v104, v42
	v_mov_b32_e32 v105, v45
	v_pk_add_f32 v[72:73], v[104:105], v[72:73]
	v_pk_mul_f32 v[104:105], v[66:67], s[22:23] op_sel_hi:[1,0]
	v_mov_b32_e32 v122, v120
	v_pk_fma_f32 v[106:107], v[64:65], s[6:7], v[104:105] op_sel:[0,0,1] op_sel_hi:[1,0,0]
	v_pk_fma_f32 v[104:105], v[64:65], s[6:7], v[104:105] op_sel:[0,0,1] op_sel_hi:[1,0,0] neg_lo:[0,0,1] neg_hi:[0,0,1]
	v_mov_b32_e32 v108, v106
	v_mov_b32_e32 v109, v105
	v_pk_add_f32 v[72:73], v[108:109], v[72:73]
	v_pk_mul_f32 v[108:109], v[70:71], s[26:27] op_sel_hi:[1,0]
	v_mov_b32_e32 v123, v119
	v_pk_fma_f32 v[110:111], v[68:69], s[0:1], v[108:109] op_sel:[0,0,1] op_sel_hi:[1,0,0]
	v_pk_fma_f32 v[108:109], v[68:69], s[0:1], v[108:109] op_sel:[0,0,1] op_sel_hi:[1,0,0] neg_lo:[0,0,1] neg_hi:[0,0,1]
	v_mov_b32_e32 v112, v110
	v_mov_b32_e32 v113, v109
	v_pk_add_f32 v[72:73], v[112:113], v[72:73]
	v_pk_mul_f32 v[112:113], v[50:51], s[24:25] op_sel_hi:[1,0]
	s_mov_b32 s30, 0x3f6f5d39
	v_pk_fma_f32 v[114:115], v[48:49], s[6:7], v[112:113] op_sel:[0,0,1] op_sel_hi:[1,0,0]
	v_pk_fma_f32 v[112:113], v[48:49], s[6:7], v[112:113] op_sel:[0,0,1] op_sel_hi:[1,0,0] neg_lo:[0,0,1] neg_hi:[0,0,1]
	v_mov_b32_e32 v116, v114
	v_mov_b32_e32 v117, v113
	v_pk_add_f32 v[116:117], v[0:1], v[116:117]
	v_pk_mul_f32 v[140:141], v[54:55], s[28:29] op_sel_hi:[1,0]
	v_pk_add_f32 v[116:117], v[122:123], v[116:117]
	v_pk_mul_f32 v[122:123], v[60:61], s[30:31] op_sel_hi:[1,0]
	v_pk_fma_f32 v[142:143], v[52:53], s[12:13], v[140:141] op_sel:[0,0,1] op_sel_hi:[1,0,0]
	v_pk_fma_f32 v[124:125], v[58:59], s[8:9], v[122:123] op_sel:[0,0,1] op_sel_hi:[1,0,0]
	v_pk_fma_f32 v[122:123], v[58:59], s[8:9], v[122:123] op_sel:[0,0,1] op_sel_hi:[1,0,0] neg_lo:[0,0,1] neg_hi:[0,0,1]
	v_mov_b32_e32 v126, v124
	v_mov_b32_e32 v127, v123
	v_pk_add_f32 v[116:117], v[126:127], v[116:117]
	v_pk_mul_f32 v[126:127], v[56:57], s[26:27] op_sel_hi:[1,0]
	v_pk_fma_f32 v[140:141], v[52:53], s[12:13], v[140:141] op_sel:[0,0,1] op_sel_hi:[1,0,0] neg_lo:[0,0,1] neg_hi:[0,0,1]
	v_pk_fma_f32 v[128:129], v[62:63], s[0:1], v[126:127] op_sel:[0,0,1] op_sel_hi:[1,0,0]
	v_pk_fma_f32 v[126:127], v[62:63], s[0:1], v[126:127] op_sel:[0,0,1] op_sel_hi:[1,0,0] neg_lo:[0,0,1] neg_hi:[0,0,1]
	v_mov_b32_e32 v130, v128
	v_mov_b32_e32 v131, v127
	v_pk_add_f32 v[116:117], v[130:131], v[116:117]
	v_pk_mul_f32 v[130:131], v[66:67], s[16:17] op_sel_hi:[1,0]
	v_mov_b32_e32 v144, v142
	v_pk_fma_f32 v[132:133], v[64:65], s[2:3], v[130:131] op_sel:[0,0,1] op_sel_hi:[1,0,0]
	v_pk_fma_f32 v[130:131], v[64:65], s[2:3], v[130:131] op_sel:[0,0,1] op_sel_hi:[1,0,0] neg_lo:[0,0,1] neg_hi:[0,0,1]
	v_mov_b32_e32 v134, v132
	v_mov_b32_e32 v135, v131
	v_pk_add_f32 v[116:117], v[134:135], v[116:117]
	v_pk_mul_f32 v[134:135], v[70:71], s[14:15] op_sel_hi:[1,0]
	v_mov_b32_e32 v145, v141
	v_pk_fma_f32 v[136:137], v[68:69], s[12:13], v[134:135] op_sel:[0,0,1] op_sel_hi:[1,0,0]
	v_pk_fma_f32 v[134:135], v[68:69], s[12:13], v[134:135] op_sel:[0,0,1] op_sel_hi:[1,0,0] neg_lo:[0,0,1] neg_hi:[0,0,1]
	v_mov_b32_e32 v138, v136
	v_mov_b32_e32 v139, v135
	v_pk_add_f32 v[116:117], v[138:139], v[116:117]
	ds_write2_b64 v89, v[72:73], v[116:117] offset0:78 offset1:117
	v_pk_mul_f32 v[72:73], v[50:51], s[10:11] op_sel_hi:[1,0]
	s_mov_b32 s28, 0x3f52af12
	v_pk_fma_f32 v[116:117], v[48:49], s[8:9], v[72:73] op_sel:[0,0,1] op_sel_hi:[1,0,0]
	v_pk_fma_f32 v[72:73], v[48:49], s[8:9], v[72:73] op_sel:[0,0,1] op_sel_hi:[1,0,0] neg_lo:[0,0,1] neg_hi:[0,0,1]
	v_mov_b32_e32 v138, v116
	v_mov_b32_e32 v139, v73
	v_pk_add_f32 v[138:139], v[0:1], v[138:139]
	v_pk_mul_f32 v[166:167], v[54:55], s[22:23] op_sel_hi:[1,0]
	v_pk_add_f32 v[138:139], v[144:145], v[138:139]
	v_pk_mul_f32 v[144:145], v[60:61], s[26:27] op_sel_hi:[1,0]
	v_pk_fma_f32 v[168:169], v[52:53], s[6:7], v[166:167] op_sel:[0,0,1] op_sel_hi:[1,0,0]
	v_pk_fma_f32 v[146:147], v[58:59], s[0:1], v[144:145] op_sel:[0,0,1] op_sel_hi:[1,0,0]
	v_pk_fma_f32 v[144:145], v[58:59], s[0:1], v[144:145] op_sel:[0,0,1] op_sel_hi:[1,0,0] neg_lo:[0,0,1] neg_hi:[0,0,1]
	v_mov_b32_e32 v148, v146
	v_mov_b32_e32 v149, v145
	v_pk_add_f32 v[138:139], v[148:149], v[138:139]
	v_pk_mul_f32 v[148:149], v[56:57], s[24:25] op_sel_hi:[1,0]
	s_mov_b32 s24, 0x3e750f2a
	v_pk_fma_f32 v[150:151], v[62:63], s[6:7], v[148:149] op_sel:[0,0,1] op_sel_hi:[1,0,0]
	v_pk_fma_f32 v[148:149], v[62:63], s[6:7], v[148:149] op_sel:[0,0,1] op_sel_hi:[1,0,0] neg_lo:[0,0,1] neg_hi:[0,0,1]
	v_mov_b32_e32 v152, v150
	v_mov_b32_e32 v153, v149
	v_pk_add_f32 v[138:139], v[152:153], v[138:139]
	v_pk_mul_f32 v[152:153], v[66:67], s[24:25] op_sel_hi:[1,0]
	v_pk_fma_f32 v[166:167], v[52:53], s[6:7], v[166:167] op_sel:[0,0,1] op_sel_hi:[1,0,0] neg_lo:[0,0,1] neg_hi:[0,0,1]
	v_pk_fma_f32 v[154:155], v[64:65], s[18:19], v[152:153] op_sel:[0,0,1] op_sel_hi:[1,0,0]
	v_pk_fma_f32 v[152:153], v[64:65], s[18:19], v[152:153] op_sel:[0,0,1] op_sel_hi:[1,0,0] neg_lo:[0,0,1] neg_hi:[0,0,1]
	v_mov_b32_e32 v156, v154
	v_mov_b32_e32 v157, v153
	v_pk_add_f32 v[138:139], v[156:157], v[138:139]
	v_pk_mul_f32 v[156:157], v[70:71], s[28:29] op_sel_hi:[1,0]
	v_mov_b32_e32 v170, v168
	v_pk_fma_f32 v[158:159], v[68:69], s[2:3], v[156:157] op_sel:[0,0,1] op_sel_hi:[1,0,0]
	v_pk_fma_f32 v[156:157], v[68:69], s[2:3], v[156:157] op_sel:[0,0,1] op_sel_hi:[1,0,0] neg_lo:[0,0,1] neg_hi:[0,0,1]
	v_mov_b32_e32 v160, v158
	v_mov_b32_e32 v161, v157
	v_pk_add_f32 v[138:139], v[160:161], v[138:139]
	v_pk_mul_f32 v[160:161], v[50:51], s[14:15] op_sel_hi:[1,0]
	v_mov_b32_e32 v171, v167
	v_pk_fma_f32 v[162:163], v[48:49], s[12:13], v[160:161] op_sel:[0,0,1] op_sel_hi:[1,0,0]
	v_pk_fma_f32 v[160:161], v[48:49], s[12:13], v[160:161] op_sel:[0,0,1] op_sel_hi:[1,0,0] neg_lo:[0,0,1] neg_hi:[0,0,1]
	v_mov_b32_e32 v164, v162
	v_mov_b32_e32 v165, v161
	v_pk_add_f32 v[164:165], v[0:1], v[164:165]
	v_pk_mul_f32 v[50:51], v[50:51], s[20:21] op_sel_hi:[1,0]
	v_pk_add_f32 v[164:165], v[170:171], v[164:165]
	v_pk_mul_f32 v[170:171], v[60:61], s[16:17] op_sel_hi:[1,0]
	v_pk_mul_f32 v[54:55], v[54:55], s[26:27] op_sel_hi:[1,0]
	v_pk_fma_f32 v[172:173], v[58:59], s[2:3], v[170:171] op_sel:[0,0,1] op_sel_hi:[1,0,0]
	v_pk_fma_f32 v[170:171], v[58:59], s[2:3], v[170:171] op_sel:[0,0,1] op_sel_hi:[1,0,0] neg_lo:[0,0,1] neg_hi:[0,0,1]
	v_mov_b32_e32 v174, v172
	v_mov_b32_e32 v175, v171
	v_pk_add_f32 v[164:165], v[174:175], v[164:165]
	v_pk_mul_f32 v[174:175], v[56:57], s[24:25] op_sel_hi:[1,0]
	v_pk_mul_f32 v[56:57], v[56:57], s[28:29] op_sel_hi:[1,0]
	v_pk_fma_f32 v[176:177], v[62:63], s[18:19], v[174:175] op_sel:[0,0,1] op_sel_hi:[1,0,0]
	v_pk_fma_f32 v[174:175], v[62:63], s[18:19], v[174:175] op_sel:[0,0,1] op_sel_hi:[1,0,0] neg_lo:[0,0,1] neg_hi:[0,0,1]
	v_mov_b32_e32 v178, v176
	v_mov_b32_e32 v179, v175
	v_pk_add_f32 v[164:165], v[178:179], v[164:165]
	v_pk_mul_f32 v[178:179], v[66:67], s[26:27] op_sel_hi:[1,0]
	v_mov_b32_e32 v161, v163
	v_pk_fma_f32 v[180:181], v[64:65], s[0:1], v[178:179] op_sel:[0,0,1] op_sel_hi:[1,0,0]
	v_pk_fma_f32 v[178:179], v[64:65], s[0:1], v[178:179] op_sel:[0,0,1] op_sel_hi:[1,0,0] neg_lo:[0,0,1] neg_hi:[0,0,1]
	v_mov_b32_e32 v182, v180
	v_mov_b32_e32 v183, v179
	v_pk_add_f32 v[164:165], v[182:183], v[164:165]
	v_pk_mul_f32 v[182:183], v[70:71], s[10:11] op_sel_hi:[1,0]
	v_mov_b32_e32 v73, v117
	v_pk_fma_f32 v[184:185], v[68:69], s[8:9], v[182:183] op_sel:[0,0,1] op_sel_hi:[1,0,0]
	v_pk_fma_f32 v[182:183], v[68:69], s[8:9], v[182:183] op_sel:[0,0,1] op_sel_hi:[1,0,0] neg_lo:[0,0,1] neg_hi:[0,0,1]
	v_mov_b32_e32 v186, v184
	v_mov_b32_e32 v187, v183
	v_pk_add_f32 v[164:165], v[186:187], v[164:165]
	ds_write2_b64 v89, v[138:139], v[164:165] offset0:156 offset1:195
	v_pk_fma_f32 v[138:139], v[48:49], s[18:19], v[50:51] op_sel:[0,0,1] op_sel_hi:[1,0,0]
	v_pk_fma_f32 v[48:49], v[48:49], s[18:19], v[50:51] op_sel:[0,0,1] op_sel_hi:[1,0,0] neg_lo:[0,0,1] neg_hi:[0,0,1]
	v_mov_b32_e32 v50, v138
	v_mov_b32_e32 v51, v49
	v_pk_fma_f32 v[164:165], v[52:53], s[0:1], v[54:55] op_sel:[0,0,1] op_sel_hi:[1,0,0]
	v_pk_fma_f32 v[52:53], v[52:53], s[0:1], v[54:55] op_sel:[0,0,1] op_sel_hi:[1,0,0] neg_lo:[0,0,1] neg_hi:[0,0,1]
	v_pk_add_f32 v[50:51], v[0:1], v[50:51]
	v_mov_b32_e32 v54, v164
	v_mov_b32_e32 v55, v53
	v_pk_add_f32 v[50:51], v[54:55], v[50:51]
	v_pk_mul_f32 v[54:55], v[60:61], s[14:15] op_sel_hi:[1,0]
	v_mov_b32_e32 v49, v139
	v_pk_fma_f32 v[60:61], v[58:59], s[12:13], v[54:55] op_sel:[0,0,1] op_sel_hi:[1,0,0]
	v_pk_fma_f32 v[54:55], v[58:59], s[12:13], v[54:55] op_sel:[0,0,1] op_sel_hi:[1,0,0] neg_lo:[0,0,1] neg_hi:[0,0,1]
	v_mov_b32_e32 v58, v60
	v_mov_b32_e32 v59, v55
	v_pk_add_f32 v[50:51], v[58:59], v[50:51]
	v_pk_fma_f32 v[58:59], v[62:63], s[2:3], v[56:57] op_sel:[0,0,1] op_sel_hi:[1,0,0]
	v_pk_fma_f32 v[56:57], v[62:63], s[2:3], v[56:57] op_sel:[0,0,1] op_sel_hi:[1,0,0] neg_lo:[0,0,1] neg_hi:[0,0,1]
	v_mov_b32_e32 v62, v58
	v_mov_b32_e32 v63, v57
	v_pk_add_f32 v[50:51], v[62:63], v[50:51]
	v_pk_mul_f32 v[62:63], v[66:67], s[10:11] op_sel_hi:[1,0]
	v_pk_add_f32 v[48:49], v[0:1], v[48:49]
	v_pk_fma_f32 v[66:67], v[64:65], s[8:9], v[62:63] op_sel:[0,0,1] op_sel_hi:[1,0,0]
	v_pk_fma_f32 v[62:63], v[64:65], s[8:9], v[62:63] op_sel:[0,0,1] op_sel_hi:[1,0,0] neg_lo:[0,0,1] neg_hi:[0,0,1]
	v_mov_b32_e32 v53, v165
	v_mov_b32_e32 v64, v66
	;; [unrolled: 1-line block ×3, first 2 shown]
	v_pk_add_f32 v[48:49], v[52:53], v[48:49]
	v_mov_b32_e32 v55, v61
	v_pk_add_f32 v[50:51], v[64:65], v[50:51]
	v_pk_mul_f32 v[64:65], v[70:71], s[22:23] op_sel_hi:[1,0]
	v_pk_add_f32 v[48:49], v[54:55], v[48:49]
	v_mov_b32_e32 v57, v59
	v_pk_fma_f32 v[70:71], v[68:69], s[6:7], v[64:65] op_sel:[0,0,1] op_sel_hi:[1,0,0]
	v_pk_fma_f32 v[64:65], v[68:69], s[6:7], v[64:65] op_sel:[0,0,1] op_sel_hi:[1,0,0] neg_lo:[0,0,1] neg_hi:[0,0,1]
	v_pk_add_f32 v[48:49], v[56:57], v[48:49]
	v_mov_b32_e32 v63, v67
	v_mov_b32_e32 v68, v70
	;; [unrolled: 1-line block ×3, first 2 shown]
	v_pk_add_f32 v[48:49], v[62:63], v[48:49]
	v_mov_b32_e32 v65, v71
	v_pk_add_f32 v[50:51], v[68:69], v[50:51]
	v_pk_add_f32 v[48:49], v[64:65], v[48:49]
	ds_write2_b64 v47, v[50:51], v[48:49] offset0:106 offset1:145
	v_pk_add_f32 v[48:49], v[0:1], v[160:161]
	v_mov_b32_e32 v167, v169
	v_pk_add_f32 v[50:51], v[0:1], v[72:73]
	v_mov_b32_e32 v141, v143
	v_pk_add_f32 v[48:49], v[166:167], v[48:49]
	v_mov_b32_e32 v171, v173
	v_pk_add_f32 v[50:51], v[140:141], v[50:51]
	v_mov_b32_e32 v145, v147
	v_pk_add_f32 v[48:49], v[170:171], v[48:49]
	v_mov_b32_e32 v175, v177
	v_pk_add_f32 v[50:51], v[144:145], v[50:51]
	v_mov_b32_e32 v149, v151
	v_pk_add_f32 v[48:49], v[174:175], v[48:49]
	v_mov_b32_e32 v179, v181
	v_pk_add_f32 v[50:51], v[148:149], v[50:51]
	v_mov_b32_e32 v153, v155
	v_pk_add_f32 v[48:49], v[178:179], v[48:49]
	v_mov_b32_e32 v183, v185
	v_pk_add_f32 v[50:51], v[152:153], v[50:51]
	v_mov_b32_e32 v157, v159
	v_pk_add_f32 v[48:49], v[182:183], v[48:49]
	v_pk_add_f32 v[50:51], v[156:157], v[50:51]
	v_mov_b32_e32 v113, v115
	v_mov_b32_e32 v33, v31
	;; [unrolled: 1-line block ×3, first 2 shown]
	ds_write2_b64 v46, v[48:49], v[50:51] offset0:56 offset1:95
	v_pk_add_f32 v[48:49], v[0:1], v[112:113]
	v_mov_b32_e32 v119, v121
	v_pk_add_f32 v[30:31], v[0:1], v[32:33]
	v_mov_b32_e32 v37, v35
	;; [unrolled: 2-line block ×15, first 2 shown]
	v_pk_add_f32 v[48:49], v[134:135], v[48:49]
	v_pk_add_f32 v[30:31], v[108:109], v[30:31]
	;; [unrolled: 1-line block ×3, first 2 shown]
	ds_write2_b64 v46, v[48:49], v[30:31] offset0:134 offset1:173
	ds_write_b64 v89, v[0:1] offset:3744
	s_waitcnt lgkmcnt(0)
	s_barrier
	ds_read2_b64 v[0:3], v89 offset1:39
	v_mov_b32_e32 v8, v7
	v_mad_u64_u32 v[8:9], s[0:1], s7, v88, v[8:9]
	v_mov_b32_e32 v7, v8
	s_waitcnt lgkmcnt(0)
	v_mul_f32_e32 v8, v103, v1
	v_fmac_f32_e32 v8, v102, v0
	v_mul_f32_e32 v0, v103, v0
	s_mov_b32 s0, 0xfc7729e9
	v_fma_f32 v0, v102, v1, -v0
	v_cvt_f64_f32_e32 v[8:9], v8
	s_mov_b32 s1, 0x3f602864
	v_cvt_f64_f32_e32 v[0:1], v0
	v_mul_f64 v[8:9], v[8:9], s[0:1]
	v_mul_f64 v[0:1], v[0:1], s[0:1]
	v_mov_b32_e32 v5, s3
	v_cvt_f32_f64_e32 v8, v[8:9]
	v_cvt_f32_f64_e32 v9, v[0:1]
	v_mad_u64_u32 v[0:1], s[2:3], s4, v92, 0
	v_mov_b32_e32 v10, v1
	v_mad_u64_u32 v[10:11], s[2:3], s5, v92, v[10:11]
	v_mov_b32_e32 v1, v10
	v_lshl_add_u64 v[4:5], v[6:7], 3, v[4:5]
	v_lshl_add_u64 v[4:5], v[0:1], 3, v[4:5]
	v_mul_f32_e32 v0, v101, v3
	v_fmac_f32_e32 v0, v100, v2
	v_cvt_f64_f32_e32 v[0:1], v0
	v_mul_f64 v[0:1], v[0:1], s[0:1]
	v_cvt_f32_f64_e32 v6, v[0:1]
	v_mul_f32_e32 v0, v101, v2
	v_fma_f32 v0, v100, v3, -v0
	v_cvt_f64_f32_e32 v[0:1], v0
	v_mul_f64 v[0:1], v[0:1], s[0:1]
	v_cvt_f32_f64_e32 v7, v[0:1]
	ds_read2_b64 v[0:3], v89 offset0:78 offset1:117
	global_store_dwordx2 v[4:5], v[8:9], off
	v_mov_b32_e32 v8, 0x138
	v_mad_u64_u32 v[4:5], s[2:3], s4, v8, v[4:5]
	s_mul_i32 s2, s5, 0x138
	s_nop 0
	v_add_u32_e32 v5, s2, v5
	global_store_dwordx2 v[4:5], v[6:7], off
	s_waitcnt lgkmcnt(0)
	v_mul_f32_e32 v6, v99, v1
	v_fmac_f32_e32 v6, v98, v0
	v_mul_f32_e32 v0, v99, v0
	v_fma_f32 v0, v98, v1, -v0
	v_cvt_f64_f32_e32 v[6:7], v6
	v_cvt_f64_f32_e32 v[0:1], v0
	v_mul_f64 v[6:7], v[6:7], s[0:1]
	v_mul_f64 v[0:1], v[0:1], s[0:1]
	v_cvt_f32_f64_e32 v6, v[6:7]
	v_cvt_f32_f64_e32 v7, v[0:1]
	v_mul_f32_e32 v0, v95, v3
	v_fmac_f32_e32 v0, v94, v2
	v_mad_u64_u32 v[4:5], s[6:7], s4, v8, v[4:5]
	v_cvt_f64_f32_e32 v[0:1], v0
	v_add_u32_e32 v5, s2, v5
	v_mul_f64 v[0:1], v[0:1], s[0:1]
	global_store_dwordx2 v[4:5], v[6:7], off
	v_cvt_f32_f64_e32 v6, v[0:1]
	v_mul_f32_e32 v0, v95, v2
	v_fma_f32 v0, v94, v3, -v0
	v_cvt_f64_f32_e32 v[0:1], v0
	v_mul_f64 v[0:1], v[0:1], s[0:1]
	v_cvt_f32_f64_e32 v7, v[0:1]
	ds_read2_b64 v[0:3], v89 offset0:156 offset1:195
	v_mad_u64_u32 v[4:5], s[6:7], s4, v8, v[4:5]
	v_add_u32_e32 v5, s2, v5
	global_store_dwordx2 v[4:5], v[6:7], off
	s_waitcnt lgkmcnt(0)
	v_mul_f32_e32 v6, v97, v1
	v_fmac_f32_e32 v6, v96, v0
	v_mul_f32_e32 v0, v97, v0
	v_fma_f32 v0, v96, v1, -v0
	v_cvt_f64_f32_e32 v[6:7], v6
	v_cvt_f64_f32_e32 v[0:1], v0
	v_mul_f64 v[6:7], v[6:7], s[0:1]
	v_mul_f64 v[0:1], v[0:1], s[0:1]
	v_cvt_f32_f64_e32 v6, v[6:7]
	v_cvt_f32_f64_e32 v7, v[0:1]
	v_mul_f32_e32 v0, v91, v3
	v_fmac_f32_e32 v0, v90, v2
	v_mad_u64_u32 v[4:5], s[6:7], s4, v8, v[4:5]
	v_cvt_f64_f32_e32 v[0:1], v0
	v_add_u32_e32 v5, s2, v5
	v_mul_f64 v[0:1], v[0:1], s[0:1]
	global_store_dwordx2 v[4:5], v[6:7], off
	v_cvt_f32_f64_e32 v6, v[0:1]
	v_mul_f32_e32 v0, v91, v2
	v_fma_f32 v0, v90, v3, -v0
	v_cvt_f64_f32_e32 v[0:1], v0
	v_mul_f64 v[0:1], v[0:1], s[0:1]
	v_cvt_f32_f64_e32 v7, v[0:1]
	ds_read2_b64 v[0:3], v47 offset0:106 offset1:145
	v_mad_u64_u32 v[4:5], s[6:7], s4, v8, v[4:5]
	v_add_u32_e32 v5, s2, v5
	global_store_dwordx2 v[4:5], v[6:7], off
	s_waitcnt lgkmcnt(0)
	v_mul_f32_e32 v6, v87, v1
	v_fmac_f32_e32 v6, v86, v0
	v_mul_f32_e32 v0, v87, v0
	v_fma_f32 v0, v86, v1, -v0
	v_cvt_f64_f32_e32 v[6:7], v6
	v_cvt_f64_f32_e32 v[0:1], v0
	v_mul_f64 v[6:7], v[6:7], s[0:1]
	v_mul_f64 v[0:1], v[0:1], s[0:1]
	v_cvt_f32_f64_e32 v6, v[6:7]
	v_cvt_f32_f64_e32 v7, v[0:1]
	v_mul_f32_e32 v0, v85, v3
	v_fmac_f32_e32 v0, v84, v2
	v_mad_u64_u32 v[4:5], s[6:7], s4, v8, v[4:5]
	v_cvt_f64_f32_e32 v[0:1], v0
	v_add_u32_e32 v5, s2, v5
	v_mul_f64 v[0:1], v[0:1], s[0:1]
	global_store_dwordx2 v[4:5], v[6:7], off
	v_cvt_f32_f64_e32 v6, v[0:1]
	v_mul_f32_e32 v0, v85, v2
	v_fma_f32 v0, v84, v3, -v0
	v_cvt_f64_f32_e32 v[0:1], v0
	v_mul_f64 v[0:1], v[0:1], s[0:1]
	v_cvt_f32_f64_e32 v7, v[0:1]
	ds_read2_b64 v[0:3], v46 offset0:56 offset1:95
	v_mad_u64_u32 v[4:5], s[6:7], s4, v8, v[4:5]
	v_add_u32_e32 v5, s2, v5
	global_store_dwordx2 v[4:5], v[6:7], off
	s_waitcnt lgkmcnt(0)
	v_mul_f32_e32 v6, v83, v1
	v_fmac_f32_e32 v6, v82, v0
	v_mul_f32_e32 v0, v83, v0
	v_fma_f32 v0, v82, v1, -v0
	v_cvt_f64_f32_e32 v[6:7], v6
	v_cvt_f64_f32_e32 v[0:1], v0
	v_mul_f64 v[6:7], v[6:7], s[0:1]
	v_mul_f64 v[0:1], v[0:1], s[0:1]
	v_cvt_f32_f64_e32 v6, v[6:7]
	v_cvt_f32_f64_e32 v7, v[0:1]
	v_mul_f32_e32 v0, v81, v3
	v_fmac_f32_e32 v0, v80, v2
	v_mad_u64_u32 v[4:5], s[6:7], s4, v8, v[4:5]
	v_cvt_f64_f32_e32 v[0:1], v0
	v_add_u32_e32 v5, s2, v5
	v_mul_f64 v[0:1], v[0:1], s[0:1]
	global_store_dwordx2 v[4:5], v[6:7], off
	v_cvt_f32_f64_e32 v6, v[0:1]
	v_mul_f32_e32 v0, v81, v2
	v_fma_f32 v0, v80, v3, -v0
	v_cvt_f64_f32_e32 v[0:1], v0
	v_mul_f64 v[0:1], v[0:1], s[0:1]
	v_cvt_f32_f64_e32 v7, v[0:1]
	ds_read2_b64 v[0:3], v46 offset0:134 offset1:173
	v_mad_u64_u32 v[4:5], s[6:7], s4, v8, v[4:5]
	v_add_u32_e32 v5, s2, v5
	global_store_dwordx2 v[4:5], v[6:7], off
	s_waitcnt lgkmcnt(0)
	v_mul_f32_e32 v6, v79, v1
	v_fmac_f32_e32 v6, v78, v0
	v_mul_f32_e32 v0, v79, v0
	v_fma_f32 v0, v78, v1, -v0
	v_cvt_f64_f32_e32 v[6:7], v6
	v_cvt_f64_f32_e32 v[0:1], v0
	v_mul_f64 v[6:7], v[6:7], s[0:1]
	v_mul_f64 v[0:1], v[0:1], s[0:1]
	v_cvt_f32_f64_e32 v6, v[6:7]
	v_cvt_f32_f64_e32 v7, v[0:1]
	v_mad_u64_u32 v[0:1], s[6:7], s4, v8, v[4:5]
	v_mul_f32_e32 v4, v77, v3
	v_fmac_f32_e32 v4, v76, v2
	v_mul_f32_e32 v2, v77, v2
	v_fma_f32 v2, v76, v3, -v2
	v_cvt_f64_f32_e32 v[4:5], v4
	v_cvt_f64_f32_e32 v[2:3], v2
	v_mul_f64 v[4:5], v[4:5], s[0:1]
	v_mul_f64 v[2:3], v[2:3], s[0:1]
	v_cvt_f32_f64_e32 v4, v[4:5]
	v_cvt_f32_f64_e32 v5, v[2:3]
	ds_read_b64 v[2:3], v89 offset:3744
	v_add_u32_e32 v1, s2, v1
	global_store_dwordx2 v[0:1], v[6:7], off
	v_mad_u64_u32 v[0:1], s[6:7], s4, v8, v[0:1]
	v_add_u32_e32 v1, s2, v1
	global_store_dwordx2 v[0:1], v[4:5], off
	s_waitcnt lgkmcnt(0)
	v_mul_f32_e32 v4, v75, v3
	v_fmac_f32_e32 v4, v74, v2
	v_mul_f32_e32 v2, v75, v2
	v_fma_f32 v2, v74, v3, -v2
	v_cvt_f64_f32_e32 v[4:5], v4
	v_cvt_f64_f32_e32 v[2:3], v2
	v_mul_f64 v[4:5], v[4:5], s[0:1]
	v_mul_f64 v[2:3], v[2:3], s[0:1]
	v_mad_u64_u32 v[0:1], s[0:1], s4, v8, v[0:1]
	v_cvt_f32_f64_e32 v4, v[4:5]
	v_cvt_f32_f64_e32 v5, v[2:3]
	v_add_u32_e32 v1, s2, v1
	global_store_dwordx2 v[0:1], v[4:5], off
.LBB0_10:
	s_endpgm
	.section	.rodata,"a",@progbits
	.p2align	6, 0x0
	.amdhsa_kernel bluestein_single_back_len507_dim1_sp_op_CI_CI
		.amdhsa_group_segment_fixed_size 12168
		.amdhsa_private_segment_fixed_size 0
		.amdhsa_kernarg_size 104
		.amdhsa_user_sgpr_count 2
		.amdhsa_user_sgpr_dispatch_ptr 0
		.amdhsa_user_sgpr_queue_ptr 0
		.amdhsa_user_sgpr_kernarg_segment_ptr 1
		.amdhsa_user_sgpr_dispatch_id 0
		.amdhsa_user_sgpr_kernarg_preload_length 0
		.amdhsa_user_sgpr_kernarg_preload_offset 0
		.amdhsa_user_sgpr_private_segment_size 0
		.amdhsa_uses_dynamic_stack 0
		.amdhsa_enable_private_segment 0
		.amdhsa_system_sgpr_workgroup_id_x 1
		.amdhsa_system_sgpr_workgroup_id_y 0
		.amdhsa_system_sgpr_workgroup_id_z 0
		.amdhsa_system_sgpr_workgroup_info 0
		.amdhsa_system_vgpr_workitem_id 0
		.amdhsa_next_free_vgpr 252
		.amdhsa_next_free_sgpr 56
		.amdhsa_accum_offset 252
		.amdhsa_reserve_vcc 1
		.amdhsa_float_round_mode_32 0
		.amdhsa_float_round_mode_16_64 0
		.amdhsa_float_denorm_mode_32 3
		.amdhsa_float_denorm_mode_16_64 3
		.amdhsa_dx10_clamp 1
		.amdhsa_ieee_mode 1
		.amdhsa_fp16_overflow 0
		.amdhsa_tg_split 0
		.amdhsa_exception_fp_ieee_invalid_op 0
		.amdhsa_exception_fp_denorm_src 0
		.amdhsa_exception_fp_ieee_div_zero 0
		.amdhsa_exception_fp_ieee_overflow 0
		.amdhsa_exception_fp_ieee_underflow 0
		.amdhsa_exception_fp_ieee_inexact 0
		.amdhsa_exception_int_div_zero 0
	.end_amdhsa_kernel
	.text
.Lfunc_end0:
	.size	bluestein_single_back_len507_dim1_sp_op_CI_CI, .Lfunc_end0-bluestein_single_back_len507_dim1_sp_op_CI_CI
                                        ; -- End function
	.section	.AMDGPU.csdata,"",@progbits
; Kernel info:
; codeLenInByte = 15856
; NumSgprs: 62
; NumVgprs: 252
; NumAgprs: 0
; TotalNumVgprs: 252
; ScratchSize: 0
; MemoryBound: 0
; FloatMode: 240
; IeeeMode: 1
; LDSByteSize: 12168 bytes/workgroup (compile time only)
; SGPRBlocks: 7
; VGPRBlocks: 31
; NumSGPRsForWavesPerEU: 62
; NumVGPRsForWavesPerEU: 252
; AccumOffset: 252
; Occupancy: 2
; WaveLimiterHint : 1
; COMPUTE_PGM_RSRC2:SCRATCH_EN: 0
; COMPUTE_PGM_RSRC2:USER_SGPR: 2
; COMPUTE_PGM_RSRC2:TRAP_HANDLER: 0
; COMPUTE_PGM_RSRC2:TGID_X_EN: 1
; COMPUTE_PGM_RSRC2:TGID_Y_EN: 0
; COMPUTE_PGM_RSRC2:TGID_Z_EN: 0
; COMPUTE_PGM_RSRC2:TIDIG_COMP_CNT: 0
; COMPUTE_PGM_RSRC3_GFX90A:ACCUM_OFFSET: 62
; COMPUTE_PGM_RSRC3_GFX90A:TG_SPLIT: 0
	.text
	.p2alignl 6, 3212836864
	.fill 256, 4, 3212836864
	.type	__hip_cuid_f89effa4750488f3,@object ; @__hip_cuid_f89effa4750488f3
	.section	.bss,"aw",@nobits
	.globl	__hip_cuid_f89effa4750488f3
__hip_cuid_f89effa4750488f3:
	.byte	0                               ; 0x0
	.size	__hip_cuid_f89effa4750488f3, 1

	.ident	"AMD clang version 19.0.0git (https://github.com/RadeonOpenCompute/llvm-project roc-6.4.0 25133 c7fe45cf4b819c5991fe208aaa96edf142730f1d)"
	.section	".note.GNU-stack","",@progbits
	.addrsig
	.addrsig_sym __hip_cuid_f89effa4750488f3
	.amdgpu_metadata
---
amdhsa.kernels:
  - .agpr_count:     0
    .args:
      - .actual_access:  read_only
        .address_space:  global
        .offset:         0
        .size:           8
        .value_kind:     global_buffer
      - .actual_access:  read_only
        .address_space:  global
        .offset:         8
        .size:           8
        .value_kind:     global_buffer
      - .actual_access:  read_only
        .address_space:  global
        .offset:         16
        .size:           8
        .value_kind:     global_buffer
      - .actual_access:  read_only
        .address_space:  global
        .offset:         24
        .size:           8
        .value_kind:     global_buffer
      - .actual_access:  read_only
        .address_space:  global
        .offset:         32
        .size:           8
        .value_kind:     global_buffer
      - .offset:         40
        .size:           8
        .value_kind:     by_value
      - .address_space:  global
        .offset:         48
        .size:           8
        .value_kind:     global_buffer
      - .address_space:  global
        .offset:         56
        .size:           8
        .value_kind:     global_buffer
      - .address_space:  global
        .offset:         64
        .size:           8
        .value_kind:     global_buffer
      - .address_space:  global
        .offset:         72
        .size:           8
        .value_kind:     global_buffer
      - .offset:         80
        .size:           4
        .value_kind:     by_value
      - .address_space:  global
        .offset:         88
        .size:           8
        .value_kind:     global_buffer
      - .address_space:  global
        .offset:         96
        .size:           8
        .value_kind:     global_buffer
    .group_segment_fixed_size: 12168
    .kernarg_segment_align: 8
    .kernarg_segment_size: 104
    .language:       OpenCL C
    .language_version:
      - 2
      - 0
    .max_flat_workgroup_size: 117
    .name:           bluestein_single_back_len507_dim1_sp_op_CI_CI
    .private_segment_fixed_size: 0
    .sgpr_count:     62
    .sgpr_spill_count: 0
    .symbol:         bluestein_single_back_len507_dim1_sp_op_CI_CI.kd
    .uniform_work_group_size: 1
    .uses_dynamic_stack: false
    .vgpr_count:     252
    .vgpr_spill_count: 0
    .wavefront_size: 64
amdhsa.target:   amdgcn-amd-amdhsa--gfx950
amdhsa.version:
  - 1
  - 2
...

	.end_amdgpu_metadata
